;; amdgpu-corpus repo=pytorch/pytorch kind=compiled arch=gfx90a opt=O3
	.text
	.amdgcn_target "amdgcn-amd-amdhsa--gfx90a"
	.amdhsa_code_object_version 6
	.section	.text._ZN2at6native12_GLOBAL__N_143distribution_elementwise_grid_stride_kernelIfLi4EZNS0_9templates4cuda21uniform_and_transformIhfPNS_17CUDAGeneratorImplEZZZNS4_16geometric_kernelIS7_EEvRNS_18TensorIteratorBaseEdT_ENKUlvE_clEvENKUlvE_clEvEUlfE_EEvSA_T1_T2_EUlP25hiprandStatePhilox4_32_10E_ZNS1_27distribution_nullary_kernelIhf15HIP_vector_typeIdLj2EES7_SJ_SE_EEvSA_SG_RKT3_T4_EUlifE_EEvlNS_15PhiloxCudaStateESF_SG_,"axG",@progbits,_ZN2at6native12_GLOBAL__N_143distribution_elementwise_grid_stride_kernelIfLi4EZNS0_9templates4cuda21uniform_and_transformIhfPNS_17CUDAGeneratorImplEZZZNS4_16geometric_kernelIS7_EEvRNS_18TensorIteratorBaseEdT_ENKUlvE_clEvENKUlvE_clEvEUlfE_EEvSA_T1_T2_EUlP25hiprandStatePhilox4_32_10E_ZNS1_27distribution_nullary_kernelIhf15HIP_vector_typeIdLj2EES7_SJ_SE_EEvSA_SG_RKT3_T4_EUlifE_EEvlNS_15PhiloxCudaStateESF_SG_,comdat
	.globl	_ZN2at6native12_GLOBAL__N_143distribution_elementwise_grid_stride_kernelIfLi4EZNS0_9templates4cuda21uniform_and_transformIhfPNS_17CUDAGeneratorImplEZZZNS4_16geometric_kernelIS7_EEvRNS_18TensorIteratorBaseEdT_ENKUlvE_clEvENKUlvE_clEvEUlfE_EEvSA_T1_T2_EUlP25hiprandStatePhilox4_32_10E_ZNS1_27distribution_nullary_kernelIhf15HIP_vector_typeIdLj2EES7_SJ_SE_EEvSA_SG_RKT3_T4_EUlifE_EEvlNS_15PhiloxCudaStateESF_SG_ ; -- Begin function _ZN2at6native12_GLOBAL__N_143distribution_elementwise_grid_stride_kernelIfLi4EZNS0_9templates4cuda21uniform_and_transformIhfPNS_17CUDAGeneratorImplEZZZNS4_16geometric_kernelIS7_EEvRNS_18TensorIteratorBaseEdT_ENKUlvE_clEvENKUlvE_clEvEUlfE_EEvSA_T1_T2_EUlP25hiprandStatePhilox4_32_10E_ZNS1_27distribution_nullary_kernelIhf15HIP_vector_typeIdLj2EES7_SJ_SE_EEvSA_SG_RKT3_T4_EUlifE_EEvlNS_15PhiloxCudaStateESF_SG_
	.p2align	8
	.type	_ZN2at6native12_GLOBAL__N_143distribution_elementwise_grid_stride_kernelIfLi4EZNS0_9templates4cuda21uniform_and_transformIhfPNS_17CUDAGeneratorImplEZZZNS4_16geometric_kernelIS7_EEvRNS_18TensorIteratorBaseEdT_ENKUlvE_clEvENKUlvE_clEvEUlfE_EEvSA_T1_T2_EUlP25hiprandStatePhilox4_32_10E_ZNS1_27distribution_nullary_kernelIhf15HIP_vector_typeIdLj2EES7_SJ_SE_EEvSA_SG_RKT3_T4_EUlifE_EEvlNS_15PhiloxCudaStateESF_SG_,@function
_ZN2at6native12_GLOBAL__N_143distribution_elementwise_grid_stride_kernelIfLi4EZNS0_9templates4cuda21uniform_and_transformIhfPNS_17CUDAGeneratorImplEZZZNS4_16geometric_kernelIS7_EEvRNS_18TensorIteratorBaseEdT_ENKUlvE_clEvENKUlvE_clEvEUlfE_EEvSA_T1_T2_EUlP25hiprandStatePhilox4_32_10E_ZNS1_27distribution_nullary_kernelIhf15HIP_vector_typeIdLj2EES7_SJ_SE_EEvSA_SG_RKT3_T4_EUlifE_EEvlNS_15PhiloxCudaStateESF_SG_: ; @_ZN2at6native12_GLOBAL__N_143distribution_elementwise_grid_stride_kernelIfLi4EZNS0_9templates4cuda21uniform_and_transformIhfPNS_17CUDAGeneratorImplEZZZNS4_16geometric_kernelIS7_EEvRNS_18TensorIteratorBaseEdT_ENKUlvE_clEvENKUlvE_clEvEUlfE_EEvSA_T1_T2_EUlP25hiprandStatePhilox4_32_10E_ZNS1_27distribution_nullary_kernelIhf15HIP_vector_typeIdLj2EES7_SJ_SE_EEvSA_SG_RKT3_T4_EUlifE_EEvlNS_15PhiloxCudaStateESF_SG_
; %bb.0:
	s_load_dword s2, s[4:5], 0x20
	s_load_dwordx2 s[0:1], s[4:5], 0x10
	s_load_dwordx4 s[8:11], s[4:5], 0x0
	s_waitcnt lgkmcnt(0)
	s_bitcmp0_b32 s2, 0
	s_mov_b32 s2, 0
	v_pk_mov_b32 v[2:3], s[0:1], s[0:1] op_sel:[0,1]
	v_pk_mov_b32 v[14:15], s[10:11], s[10:11] op_sel:[0,1]
	s_cbranch_scc1 .LBB0_2
; %bb.1:
	v_pk_mov_b32 v[2:3], s[0:1], s[0:1] op_sel:[0,1]
	flat_load_dwordx2 v[2:3], v[2:3]
	v_pk_mov_b32 v[4:5], s[10:11], s[10:11] op_sel:[0,1]
	flat_load_dwordx2 v[14:15], v[4:5]
	s_load_dwordx2 s[0:1], s[4:5], 0x18
	s_waitcnt lgkmcnt(0)
	v_mov_b32_e32 v1, s1
	s_waitcnt vmcnt(0)
	v_add_co_u32_e32 v2, vcc, s0, v2
	v_addc_co_u32_e32 v3, vcc, v3, v1, vcc
.LBB0_2:
	s_load_dword s0, s[4:5], 0x54
	s_load_dword s17, s[4:5], 0x48
	s_waitcnt lgkmcnt(0)
	s_and_b32 s7, s0, 0xffff
	s_add_u32 s10, s8, -1
	s_mul_i32 s12, s17, s7
	s_addc_u32 s3, s9, -1
	s_lshl_b32 s13, s12, 2
	s_cmp_lg_u64 s[2:3], 0
	s_mov_b64 s[0:1], -1
	s_cbranch_scc0 .LBB0_27
; %bb.3:
	v_cvt_f32_u32_e32 v1, s13
	v_cvt_f32_ubyte0_e32 v4, 0
	s_sub_u32 s2, 0, s13
	s_subb_u32 s11, 0, 0
	v_madmk_f32 v1, v4, 0x4f800000, v1
	v_rcp_f32_e32 v1, v1
	v_mul_f32_e32 v1, 0x5f7ffffc, v1
	v_mul_f32_e32 v4, 0x2f800000, v1
	v_trunc_f32_e32 v4, v4
	v_madmk_f32 v1, v4, 0xcf800000, v1
	v_cvt_u32_f32_e32 v4, v4
	v_cvt_u32_f32_e32 v1, v1
	v_readfirstlane_b32 s14, v4
	v_readfirstlane_b32 s15, v1
	s_mul_i32 s16, s2, s14
	s_mul_hi_u32 s19, s2, s15
	s_mul_i32 s18, s11, s15
	s_add_i32 s16, s19, s16
	s_add_i32 s16, s16, s18
	s_mul_i32 s20, s2, s15
	s_mul_hi_u32 s18, s15, s16
	s_mul_i32 s19, s15, s16
	s_mul_hi_u32 s15, s15, s20
	s_add_u32 s15, s15, s19
	s_addc_u32 s18, 0, s18
	s_mul_hi_u32 s21, s14, s20
	s_mul_i32 s20, s14, s20
	s_add_u32 s15, s15, s20
	s_mul_hi_u32 s19, s14, s16
	s_addc_u32 s15, s18, s21
	s_addc_u32 s18, s19, 0
	s_mul_i32 s16, s14, s16
	s_add_u32 s15, s15, s16
	s_addc_u32 s16, 0, s18
	v_add_co_u32_e32 v1, vcc, s15, v1
	s_cmp_lg_u64 vcc, 0
	s_addc_u32 s14, s14, s16
	v_readfirstlane_b32 s16, v1
	s_mul_i32 s15, s2, s14
	s_mul_hi_u32 s18, s2, s16
	s_add_i32 s15, s18, s15
	s_mul_i32 s11, s11, s16
	s_add_i32 s15, s15, s11
	s_mul_i32 s2, s2, s16
	s_mul_hi_u32 s18, s14, s2
	s_mul_i32 s19, s14, s2
	s_mul_i32 s21, s16, s15
	s_mul_hi_u32 s2, s16, s2
	s_mul_hi_u32 s20, s16, s15
	s_add_u32 s2, s2, s21
	s_addc_u32 s16, 0, s20
	s_add_u32 s2, s2, s19
	s_mul_hi_u32 s11, s14, s15
	s_addc_u32 s2, s16, s18
	s_addc_u32 s11, s11, 0
	s_mul_i32 s15, s14, s15
	s_add_u32 s2, s2, s15
	s_addc_u32 s11, 0, s11
	v_add_co_u32_e32 v1, vcc, s2, v1
	s_cmp_lg_u64 vcc, 0
	s_addc_u32 s11, s14, s11
	s_ashr_i32 s14, s3, 31
	s_add_u32 s2, s10, s14
	s_mov_b32 s15, s14
	s_addc_u32 s3, s3, s14
	s_xor_b64 s[2:3], s[2:3], s[14:15]
	v_readfirstlane_b32 s19, v1
	s_mul_i32 s18, s2, s11
	s_mul_hi_u32 s20, s2, s19
	s_mul_hi_u32 s16, s2, s11
	s_add_u32 s18, s20, s18
	s_addc_u32 s16, 0, s16
	s_mul_hi_u32 s21, s3, s19
	s_mul_i32 s19, s3, s19
	s_add_u32 s18, s18, s19
	s_mul_hi_u32 s20, s3, s11
	s_addc_u32 s16, s16, s21
	s_addc_u32 s18, s20, 0
	s_mul_i32 s11, s3, s11
	s_add_u32 s11, s16, s11
	s_addc_u32 s16, 0, s18
	s_add_u32 s18, s11, 1
	s_addc_u32 s19, s16, 0
	s_add_u32 s20, s11, 2
	s_mul_i32 s22, s13, s16
	s_mul_hi_u32 s23, s13, s11
	s_addc_u32 s21, s16, 0
	s_add_i32 s23, s23, s22
	s_mul_i32 s22, s13, s11
	v_mov_b32_e32 v1, s22
	v_sub_co_u32_e32 v1, vcc, s2, v1
	s_cmp_lg_u64 vcc, 0
	s_subb_u32 s2, s3, s23
	v_subrev_co_u32_e32 v4, vcc, s13, v1
	s_cmp_lg_u64 vcc, 0
	s_subb_u32 s3, s2, 0
	v_readfirstlane_b32 s22, v4
	s_cmp_ge_u32 s22, s13
	s_cselect_b32 s22, -1, 0
	s_cmp_eq_u32 s3, 0
	s_cselect_b32 s3, s22, -1
	s_cmp_lg_u32 s3, 0
	s_cselect_b32 s3, s21, s19
	v_readfirstlane_b32 s19, v1
	s_cselect_b32 s18, s20, s18
	s_cmp_ge_u32 s19, s13
	s_cselect_b32 s19, -1, 0
	s_cmp_eq_u32 s2, 0
	s_cselect_b32 s2, s19, -1
	s_cmp_lg_u32 s2, 0
	s_cselect_b32 s3, s3, s16
	s_cselect_b32 s2, s18, s11
	s_xor_b64 s[2:3], s[2:3], s[14:15]
	s_sub_u32 s2, s2, s14
	s_subb_u32 s3, s3, s14
	s_cbranch_execnz .LBB0_5
.LBB0_4:
	v_cvt_f32_u32_e32 v1, s13
	s_sub_i32 s0, 0, s13
	s_mov_b32 s3, 0
	v_rcp_iflag_f32_e32 v1, v1
	v_mul_f32_e32 v1, 0x4f7ffffe, v1
	v_cvt_u32_f32_e32 v1, v1
	v_readfirstlane_b32 s1, v1
	s_mul_i32 s0, s0, s1
	s_mul_hi_u32 s0, s1, s0
	s_add_i32 s1, s1, s0
	s_mul_hi_u32 s0, s10, s1
	s_mul_i32 s2, s0, s13
	s_sub_i32 s2, s10, s2
	s_add_i32 s1, s0, 1
	s_sub_i32 s10, s2, s13
	s_cmp_ge_u32 s2, s13
	s_cselect_b32 s0, s1, s0
	s_cselect_b32 s2, s10, s2
	s_add_i32 s1, s0, 1
	s_cmp_ge_u32 s2, s13
	s_cselect_b32 s2, s1, s0
.LBB0_5:
	v_mov_b32_e32 v1, 0
	v_mov_b32_e32 v4, s6
	v_mad_u64_u32 v[16:17], s[0:1], s7, v4, v[0:1]
	s_add_u32 s0, s2, 1
	s_addc_u32 s1, s3, 0
	s_mul_hi_u32 s2, s17, s7
	s_mul_i32 s1, s12, s1
	s_mul_hi_u32 s3, s12, s0
	s_add_i32 s1, s3, s1
	s_mul_i32 s2, s2, s0
	s_add_i32 s1, s1, s2
	s_mul_i32 s0, s12, s0
	s_lshl_b64 s[2:3], s[0:1], 2
	v_cmp_gt_i64_e32 vcc, s[2:3], v[16:17]
	s_and_saveexec_b64 s[0:1], vcc
	s_cbranch_execz .LBB0_26
; %bb.6:
	s_load_dwordx2 s[10:11], s[4:5], 0x30
	s_load_dword s25, s[4:5], 0x38
	s_load_dwordx2 s[0:1], s[4:5], 0x40
	s_mov_b32 s4, 0x5384540f
	v_mov_b32_e32 v4, v15
	v_add_co_u32_e32 v22, vcc, s4, v14
	s_mov_b32 s4, 0x646e171e
	v_add_co_u32_e32 v23, vcc, s4, v4
	s_mov_b32 s4, 0x1715609d
	;; [unrolled: 2-line block ×6, first 2 shown]
	v_alignbit_b32 v29, v3, v2, 2
	s_mov_b32 s15, 0xd2511f53
	v_add_co_u32_e32 v28, vcc, s4, v14
	v_mad_u64_u32 v[6:7], s[4:5], v29, s15, 0
	v_xor_b32_e32 v1, v7, v15
	v_xor_b32_e32 v1, v1, v17
	s_mov_b32 s16, 0xcd9e8d57
	v_mad_u64_u32 v[8:9], s[4:5], v1, s16, 0
	v_xor_b32_e32 v1, v28, v9
	v_mad_u64_u32 v[10:11], s[4:5], v16, s16, 0
	v_and_b32_e32 v18, 3, v2
	v_xor_b32_e32 v1, v1, v10
	v_xor_b32_e32 v2, v14, v11
	v_lshrrev_b32_e32 v30, 2, v3
	v_mad_u64_u32 v[12:13], s[4:5], v1, s15, 0
	v_xor_b32_e32 v2, v2, v30
	v_xor_b32_e32 v1, v27, v13
	v_mad_u64_u32 v[2:3], s[4:5], v2, s15, 0
	v_xor_b32_e32 v1, v1, v2
	v_mad_u64_u32 v[10:11], s[4:5], v1, s16, 0
	s_mov_b32 s4, 0xbb67ae85
	v_add_co_u32_e32 v31, vcc, s4, v4
	v_xor_b32_e32 v2, v31, v3
	v_xor_b32_e32 v2, v2, v6
	v_xor_b32_e32 v1, v26, v11
	v_mad_u64_u32 v[2:3], s[4:5], v2, s16, 0
	v_xor_b32_e32 v1, v1, v2
	v_mad_u64_u32 v[6:7], s[4:5], v1, s15, 0
	s_mov_b32 s4, 0x3c6ef372
	v_add_co_u32_e32 v32, vcc, s4, v14
	v_xor_b32_e32 v2, v32, v3
	;; [unrolled: 8-line block ×6, first 2 shown]
	v_add_co_u32_e32 v21, vcc, 0xdb3d7428, v4
	v_xor_b32_e32 v2, v2, v8
	v_xor_b32_e32 v1, v21, v41
	v_mad_u64_u32 v[2:3], s[4:5], v2, s15, 0
	v_xor_b32_e32 v1, v1, v2
	v_mad_u64_u32 v[8:9], s[4:5], v1, s16, 0
	s_mov_b32 s4, 0x1fd5c5a3
	v_add_co_u32_e32 v37, vcc, s4, v4
	v_xor_b32_e32 v1, v37, v3
	v_xor_b32_e32 v1, v1, v12
	v_mad_u64_u32 v[2:3], s[4:5], v1, s16, 0
	s_mov_b32 s4, 0xf1bbcdc8
	v_add_u32_e32 v19, 0x8ff34781, v14
	v_xor_b32_e32 v1, v9, v2
	v_add_co_u32_e32 v38, vcc, s4, v14
	v_xor_b32_e32 v2, v19, v1
	v_xor_b32_e32 v1, v38, v3
	;; [unrolled: 1-line block ×3, first 2 shown]
	v_mad_u64_u32 v[6:7], s[4:5], v1, s15, 0
	v_add_u32_e32 v20, 0x96a522ad, v15
	v_xor_b32_e32 v1, v7, v40
	v_xor_b32_e32 v4, v20, v1
	s_waitcnt lgkmcnt(0)
	v_cvt_f32_f64_e32 v1, s[0:1]
	v_sub_f32_e32 v5, 1.0, v1
	v_add_f32_e32 v7, -1.0, v5
	v_mov_b32_e32 v3, v8
	v_sub_f32_e32 v8, v7, v5
	v_add_f32_e32 v8, 1.0, v8
	v_sub_f32_e64 v7, -v1, v7
	v_add_f32_e32 v7, v7, v8
	v_frexp_mant_f32_e32 v10, v5
	s_mov_b32 s0, 0x3f2aaaab
	v_cvt_f64_f32_e32 v[8:9], v5
	v_frexp_exp_i32_f64_e32 v8, v[8:9]
	v_cmp_gt_f32_e32 vcc, s0, v10
	v_subbrev_co_u32_e32 v8, vcc, 0, v8, vcc
	v_sub_u32_e32 v9, 0, v8
	v_ldexp_f32 v5, v5, v9
	v_ldexp_f32 v7, v7, v9
	v_add_f32_e32 v9, -1.0, v5
	v_add_f32_e32 v12, 1.0, v5
	v_add_f32_e32 v10, 1.0, v9
	v_add_f32_e32 v13, -1.0, v12
	v_sub_f32_e32 v10, v5, v10
	v_sub_f32_e32 v5, v5, v13
	v_add_f32_e32 v5, v7, v5
	v_add_f32_e32 v10, v7, v10
	;; [unrolled: 1-line block ×3, first 2 shown]
	v_rcp_f32_e32 v13, v7
	v_add_f32_e32 v11, v9, v10
	v_sub_f32_e32 v9, v11, v9
	v_sub_f32_e32 v9, v10, v9
	;; [unrolled: 1-line block ×4, first 2 shown]
	v_mul_f32_e32 v10, v11, v13
	v_mul_f32_e32 v12, v7, v10
	v_fma_f32 v39, v10, v7, -v12
	v_fmac_f32_e32 v39, v10, v5
	v_add_f32_e32 v40, v12, v39
	v_sub_f32_e32 v41, v11, v40
	v_sub_f32_e32 v11, v11, v41
	v_sub_f32_e32 v12, v40, v12
	v_sub_f32_e32 v11, v11, v40
	v_add_f32_e32 v9, v9, v11
	v_sub_f32_e32 v11, v12, v39
	v_add_f32_e32 v9, v11, v9
	v_add_f32_e32 v11, v41, v9
	v_mul_f32_e32 v12, v13, v11
	v_mul_f32_e32 v39, v7, v12
	v_fma_f32 v7, v12, v7, -v39
	v_fmac_f32_e32 v7, v12, v5
	v_sub_f32_e32 v5, v41, v11
	v_add_f32_e32 v5, v9, v5
	v_add_f32_e32 v9, v39, v7
	v_sub_f32_e32 v40, v11, v9
	v_sub_f32_e32 v11, v11, v40
	;; [unrolled: 1-line block ×4, first 2 shown]
	v_add_f32_e32 v5, v5, v9
	v_sub_f32_e32 v7, v39, v7
	v_add_f32_e32 v5, v7, v5
	v_add_f32_e32 v7, v10, v12
	;; [unrolled: 1-line block ×3, first 2 shown]
	v_sub_f32_e32 v9, v7, v10
	v_mul_f32_e32 v5, v13, v5
	v_sub_f32_e32 v9, v12, v9
	v_add_f32_e32 v5, v9, v5
	v_cvt_f32_i32_e32 v8, v8
	v_add_f32_e32 v9, v7, v5
	v_mul_f32_e32 v10, v9, v9
	v_mov_b32_e32 v11, 0x3ecc95a3
	v_fmac_f32_e32 v11, 0x3e9b6dac, v10
	v_mov_b32_e32 v12, 0x3f2aaada
	v_fmac_f32_e32 v12, v10, v11
	s_mov_b32 s0, 0x3f317218
	v_mul_f32_e32 v11, 0x3f317218, v8
	v_fma_f32 v13, v8, s0, -v11
	v_fmac_f32_e32 v13, 0xb102e308, v8
	v_sub_f32_e32 v7, v9, v7
	v_sub_f32_e32 v5, v5, v7
	v_add_f32_e32 v7, v11, v13
	v_sub_f32_e32 v8, v7, v11
	v_ldexp_f32 v11, v9, 1
	v_mul_f32_e32 v9, v9, v10
	v_mul_f32_e32 v9, v9, v12
	v_add_f32_e32 v10, v11, v9
	v_sub_f32_e32 v11, v10, v11
	v_ldexp_f32 v5, v5, 1
	v_sub_f32_e32 v9, v9, v11
	v_add_f32_e32 v5, v5, v9
	v_add_f32_e32 v9, v10, v5
	v_sub_f32_e32 v10, v9, v10
	v_sub_f32_e32 v5, v5, v10
	v_add_f32_e32 v10, v7, v9
	v_sub_f32_e32 v11, v10, v7
	v_sub_f32_e32 v12, v10, v11
	;; [unrolled: 1-line block ×5, first 2 shown]
	v_add_f32_e32 v7, v9, v7
	v_add_f32_e32 v9, v8, v5
	v_sub_f32_e32 v11, v9, v8
	v_sub_f32_e32 v12, v9, v11
	;; [unrolled: 1-line block ×4, first 2 shown]
	v_add_f32_e32 v7, v9, v7
	v_add_f32_e32 v5, v5, v8
	;; [unrolled: 1-line block ×3, first 2 shown]
	v_sub_f32_e32 v9, v8, v10
	v_sub_f32_e32 v7, v7, v9
	v_add_f32_e32 v5, v5, v7
	s_mov_b32 s0, 0xff800000
	v_add_f32_e32 v5, v8, v5
	v_cmp_eq_f32_e32 vcc, s0, v1
	v_cndmask_b32_e64 v5, v5, -v1, vcc
	v_mov_b32_e32 v7, 0x7fc00000
	v_cmp_nlt_f32_e32 vcc, 1.0, v1
	v_cndmask_b32_e32 v5, v7, v5, vcc
	v_mov_b32_e32 v7, 0xff800000
	v_cmp_neq_f32_e32 vcc, 1.0, v1
	s_mov_b32 s0, 0x33800000
	v_cndmask_b32_e32 v5, v7, v5, vcc
	v_log_f32_e32 v7, s0
	v_cmp_lt_f32_e64 s[0:1], |v1|, s0
	v_cndmask_b32_e64 v39, v5, -v1, s[0:1]
	s_mov_b32 s18, 0x3f317217
	v_mul_f32_e32 v1, 0x3f317217, v7
	v_fma_f32 v5, v7, s18, -v1
	v_fmac_f32_e32 v5, 0x3377d1cf, v7
	s_mov_b32 s19, 0x7f800000
	v_add_f32_e32 v1, v1, v5
	v_cmp_lt_f32_e64 vcc, |v7|, s19
	v_cndmask_b32_e32 v1, v7, v1, vcc
	v_div_scale_f32 v7, s[0:1], v39, v39, v1
	v_rcp_f32_e32 v8, v7
	v_mov_b32_e32 v5, v6
	s_mul_i32 s0, s6, s7
	s_mov_b32 s14, 0
	v_fma_f32 v6, -v7, v8, 1.0
	v_fmac_f32_e32 v8, v6, v8
	v_div_scale_f32 v6, vcc, v1, v39, v1
	v_mul_f32_e32 v9, v6, v8
	v_fma_f32 v10, -v7, v9, v6
	v_fmac_f32_e32 v9, v10, v8
	v_fma_f32 v6, -v7, v9, v6
	v_div_fmas_f32 v6, v6, v8, v9
	v_div_fixup_f32 v1, v6, v39, v1
	v_ceil_f32_e32 v1, v1
	v_cvt_i32_f32_e32 v40, v1
	v_add_u32_e32 v1, s0, v0
	s_mul_i32 s0, s17, s25
	s_mul_i32 s0, s0, s7
	s_lshl_b32 s24, s0, 2
	s_mul_i32 s0, s17, 3
	s_add_i32 s0, s6, s0
	s_mul_i32 s0, s0, s7
	v_mul_lo_u32 v41, s25, v1
	v_add_u32_e32 v1, s0, v0
	s_lshl_b32 s0, s17, 1
	s_add_i32 s0, s6, s0
	s_mul_i32 s0, s0, s7
	v_mul_lo_u32 v42, s25, v1
	v_add_u32_e32 v1, s0, v0
	s_add_i32 s0, s6, s17
	s_mul_i32 s0, s0, s7
	v_add_u32_e32 v0, s0, v0
	s_lshl_b32 s20, s12, 1
	s_mov_b32 s21, s14
	s_mul_i32 s22, s12, 3
	s_mov_b32 s23, s14
	v_mul_lo_u32 v43, s25, v1
	v_mul_lo_u32 v44, s25, v0
	s_mov_b64 s[4:5], 0
	s_mov_b32 s17, 0x800000
	v_mov_b32_e32 v45, 0x4f800000
	v_mov_b32_e32 v46, 0x41b17218
	s_mov_b32 s25, s14
	v_mov_b32_e32 v47, v16
	v_mov_b32_e32 v48, v17
	s_branch .LBB0_8
.LBB0_7:                                ;   in Loop: Header=BB0_8 Depth=1
	s_or_b64 exec, exec, s[0:1]
	v_add_co_u32_e32 v16, vcc, s13, v16
	v_addc_co_u32_e32 v17, vcc, 0, v17, vcc
	v_mov_b32_e32 v9, v0
	s_add_i32 s25, s25, s24
	v_cmp_le_i64_e32 vcc, s[2:3], v[16:17]
	v_pk_mov_b32 v[2:3], v[6:7], v[6:7] op_sel:[0,1]
	s_or_b64 s[4:5], vcc, s[4:5]
	v_pk_mov_b32 v[4:5], v[8:9], v[8:9] op_sel:[0,1]
	s_barrier
	s_andn2_b64 exec, exec, s[4:5]
	s_cbranch_execz .LBB0_26
.LBB0_8:                                ; =>This Inner Loop Header: Depth=1
	v_add_co_u32_e32 v29, vcc, 1, v29
	v_cndmask_b32_e64 v0, 0, 1, vcc
	v_addc_co_u32_e32 v30, vcc, 0, v30, vcc
	v_cmp_eq_u32_e32 vcc, 0, v30
	v_cndmask_b32_e32 v0, 0, v0, vcc
	v_add_u32_e32 v47, v0, v47
	v_cmp_eq_u32_e32 vcc, 0, v47
	v_cndmask_b32_e32 v0, 0, v0, vcc
	v_add_u32_e32 v48, v0, v48
	v_mad_u64_u32 v[0:1], s[0:1], v29, s15, 0
	v_mad_u64_u32 v[6:7], s[0:1], v47, s16, 0
	v_xor_b32_e32 v1, v1, v15
	v_xor_b32_e32 v7, v7, v14
	v_xor_b32_e32 v1, v48, v1
	v_xor_b32_e32 v7, v30, v7
	v_mad_u64_u32 v[10:11], s[0:1], v1, s16, 0
	v_mad_u64_u32 v[8:9], s[0:1], v7, s15, 0
	v_xor_b32_e32 v1, v28, v11
	v_xor_b32_e32 v1, v1, v6
	v_xor_b32_e32 v6, v31, v9
	v_xor_b32_e32 v6, v6, v0
	;; [unrolled: 6-line block ×10, first 2 shown]
	v_mov_b32_e32 v7, v12
	v_mov_b32_e32 v8, v13
	v_cmp_lt_i32_e32 vcc, 1, v18
	s_and_saveexec_b64 s[0:1], vcc
	s_xor_b64 s[0:1], exec, s[0:1]
	s_cbranch_execnz .LBB0_18
; %bb.9:                                ;   in Loop: Header=BB0_8 Depth=1
	s_andn2_saveexec_b64 s[0:1], s[0:1]
	s_cbranch_execnz .LBB0_23
.LBB0_10:                               ;   in Loop: Header=BB0_8 Depth=1
	s_or_b64 exec, exec, s[0:1]
	v_cmp_gt_i64_e32 vcc, s[8:9], v[16:17]
	s_and_saveexec_b64 s[6:7], vcc
	s_cbranch_execz .LBB0_12
.LBB0_11:                               ;   in Loop: Header=BB0_8 Depth=1
	v_lshrrev_b32_e32 v1, 11, v3
	v_cvt_f64_u32_e32 v[10:11], v1
	v_ldexp_f64 v[10:11], v[10:11], 32
	v_cvt_f64_u32_e32 v[2:3], v2
	v_add_f64 v[2:3], v[10:11], v[2:3]
	v_mov_b32_e32 v10, 0
	v_mov_b32_e32 v11, 0x3ca00000
	v_fmac_f64_e32 v[10:11], 0x3ca00000, v[2:3]
	v_cvt_f32_f64_e32 v1, v[10:11]
	v_cmp_gt_f32_e32 vcc, s17, v1
	v_cndmask_b32_e32 v2, 1.0, v45, vcc
	v_mul_f32_e32 v1, v1, v2
	v_log_f32_e32 v1, v1
	v_add_u32_e32 v9, s25, v41
	v_ashrrev_i32_e32 v10, 31, v9
	v_mov_b32_e32 v11, s11
	v_mul_f32_e32 v2, 0x3f317217, v1
	v_fma_f32 v3, v1, s18, -v2
	v_fmac_f32_e32 v3, 0x3377d1cf, v1
	v_add_f32_e32 v2, v2, v3
	v_cmp_lt_f32_e64 s[0:1], |v1|, s19
	v_cndmask_b32_e64 v1, v1, v2, s[0:1]
	v_cndmask_b32_e32 v2, 0, v46, vcc
	v_sub_f32_e32 v1, v1, v2
	v_div_scale_f32 v2, s[0:1], v39, v39, v1
	v_rcp_f32_e32 v3, v2
	v_fma_f32 v12, -v2, v3, 1.0
	v_fmac_f32_e32 v3, v12, v3
	v_div_scale_f32 v12, vcc, v1, v39, v1
	v_mul_f32_e32 v13, v12, v3
	v_fma_f32 v49, -v2, v13, v12
	v_fmac_f32_e32 v13, v49, v3
	v_fma_f32 v2, -v2, v13, v12
	v_div_fmas_f32 v2, v2, v3, v13
	v_div_fixup_f32 v1, v2, v39, v1
	v_ceil_f32_e32 v1, v1
	v_cvt_i32_f32_e32 v1, v1
	v_add_co_u32_e32 v2, vcc, s10, v9
	v_addc_co_u32_e32 v3, vcc, v11, v10, vcc
	global_store_byte v[2:3], v1, off
.LBB0_12:                               ;   in Loop: Header=BB0_8 Depth=1
	s_or_b64 exec, exec, s[6:7]
	v_mov_b32_e32 v1, s14
	v_add_co_u32_e32 v2, vcc, s12, v16
	v_addc_co_u32_e32 v3, vcc, v1, v17, vcc
	v_cmp_gt_i64_e32 vcc, s[8:9], v[2:3]
	s_and_saveexec_b64 s[6:7], vcc
	s_cbranch_execz .LBB0_14
; %bb.13:                               ;   in Loop: Header=BB0_8 Depth=1
	v_lshrrev_b32_e32 v1, 11, v5
	v_cvt_f64_u32_e32 v[2:3], v1
	v_ldexp_f64 v[2:3], v[2:3], 32
	v_cvt_f64_u32_e32 v[4:5], v4
	v_add_f64 v[2:3], v[2:3], v[4:5]
	v_mov_b32_e32 v4, 0
	v_mov_b32_e32 v5, 0x3ca00000
	v_fmac_f64_e32 v[4:5], 0x3ca00000, v[2:3]
	v_cvt_f32_f64_e32 v1, v[4:5]
	v_cmp_gt_f32_e32 vcc, s17, v1
	v_cndmask_b32_e32 v2, 1.0, v45, vcc
	v_mul_f32_e32 v1, v1, v2
	v_log_f32_e32 v1, v1
	v_add_u32_e32 v4, s25, v44
	v_ashrrev_i32_e32 v5, 31, v4
	v_mov_b32_e32 v9, s11
	v_mul_f32_e32 v2, 0x3f317217, v1
	v_fma_f32 v3, v1, s18, -v2
	v_fmac_f32_e32 v3, 0x3377d1cf, v1
	v_add_f32_e32 v2, v2, v3
	v_cmp_lt_f32_e64 s[0:1], |v1|, s19
	v_cndmask_b32_e64 v1, v1, v2, s[0:1]
	v_cndmask_b32_e32 v2, 0, v46, vcc
	v_sub_f32_e32 v1, v1, v2
	v_div_scale_f32 v2, s[0:1], v39, v39, v1
	v_rcp_f32_e32 v3, v2
	v_fma_f32 v10, -v2, v3, 1.0
	v_fmac_f32_e32 v3, v10, v3
	v_div_scale_f32 v10, vcc, v1, v39, v1
	v_mul_f32_e32 v11, v10, v3
	v_fma_f32 v12, -v2, v11, v10
	v_fmac_f32_e32 v11, v12, v3
	v_fma_f32 v2, -v2, v11, v10
	v_div_fmas_f32 v2, v2, v3, v11
	v_div_fixup_f32 v1, v2, v39, v1
	v_ceil_f32_e32 v1, v1
	v_cvt_i32_f32_e32 v1, v1
	v_add_co_u32_e32 v2, vcc, s10, v4
	v_addc_co_u32_e32 v3, vcc, v9, v5, vcc
	global_store_byte v[2:3], v1, off
.LBB0_14:                               ;   in Loop: Header=BB0_8 Depth=1
	s_or_b64 exec, exec, s[6:7]
	v_mov_b32_e32 v1, s21
	v_add_co_u32_e32 v2, vcc, s20, v16
	v_addc_co_u32_e32 v3, vcc, v1, v17, vcc
	v_cmp_gt_i64_e32 vcc, s[8:9], v[2:3]
	s_and_saveexec_b64 s[0:1], vcc
	s_cbranch_execz .LBB0_16
; %bb.15:                               ;   in Loop: Header=BB0_8 Depth=1
	v_add_u32_e32 v1, s25, v43
	v_ashrrev_i32_e32 v3, 31, v1
	v_mov_b32_e32 v4, s11
	v_add_co_u32_e32 v2, vcc, s10, v1
	v_addc_co_u32_e32 v3, vcc, v4, v3, vcc
	global_store_byte v[2:3], v40, off
.LBB0_16:                               ;   in Loop: Header=BB0_8 Depth=1
	s_or_b64 exec, exec, s[0:1]
	v_mov_b32_e32 v1, s23
	v_add_co_u32_e32 v2, vcc, s22, v16
	v_addc_co_u32_e32 v3, vcc, v1, v17, vcc
	v_cmp_gt_i64_e32 vcc, s[8:9], v[2:3]
	s_and_saveexec_b64 s[0:1], vcc
	s_cbranch_execz .LBB0_7
; %bb.17:                               ;   in Loop: Header=BB0_8 Depth=1
	v_add_u32_e32 v1, s25, v42
	v_ashrrev_i32_e32 v3, 31, v1
	v_mov_b32_e32 v4, s11
	v_add_co_u32_e32 v2, vcc, s10, v1
	v_addc_co_u32_e32 v3, vcc, v4, v3, vcc
	global_store_byte v[2:3], v40, off
	s_branch .LBB0_7
.LBB0_18:                               ;   in Loop: Header=BB0_8 Depth=1
	v_cmp_lt_i32_e32 vcc, 2, v18
	s_and_saveexec_b64 s[6:7], vcc
	s_xor_b64 s[6:7], exec, s[6:7]
; %bb.19:                               ;   in Loop: Header=BB0_8 Depth=1
	v_mov_b32_e32 v10, v5
	v_mov_b32_e32 v11, v6
	v_pk_mov_b32 v[2:3], v[10:11], v[10:11] op_sel:[0,1]
	v_pk_mov_b32 v[4:5], v[12:13], v[12:13] op_sel:[0,1]
                                        ; implicit-def: $vgpr12_vgpr13
; %bb.20:                               ;   in Loop: Header=BB0_8 Depth=1
	s_andn2_saveexec_b64 s[6:7], s[6:7]
; %bb.21:                               ;   in Loop: Header=BB0_8 Depth=1
	v_mov_b32_e32 v2, v4
	v_mov_b32_e32 v3, v5
	v_mov_b32_e32 v4, v6
	v_mov_b32_e32 v5, v12
; %bb.22:                               ;   in Loop: Header=BB0_8 Depth=1
	s_or_b64 exec, exec, s[6:7]
	s_andn2_saveexec_b64 s[0:1], s[0:1]
	s_cbranch_execz .LBB0_10
.LBB0_23:                               ;   in Loop: Header=BB0_8 Depth=1
	v_cmp_eq_u32_e32 vcc, 1, v18
	s_and_saveexec_b64 s[6:7], vcc
; %bb.24:                               ;   in Loop: Header=BB0_8 Depth=1
	v_mov_b32_e32 v2, v3
	v_mov_b32_e32 v3, v4
	;; [unrolled: 1-line block ×4, first 2 shown]
; %bb.25:                               ;   in Loop: Header=BB0_8 Depth=1
	s_or_b64 exec, exec, s[6:7]
	s_or_b64 exec, exec, s[0:1]
	v_cmp_gt_i64_e32 vcc, s[8:9], v[16:17]
	s_and_saveexec_b64 s[6:7], vcc
	s_cbranch_execnz .LBB0_11
	s_branch .LBB0_12
.LBB0_26:
	s_endpgm
.LBB0_27:
                                        ; implicit-def: $sgpr2_sgpr3
	s_andn2_b64 vcc, exec, s[0:1]
	s_cbranch_vccz .LBB0_4
	s_branch .LBB0_5
	.section	.rodata,"a",@progbits
	.p2align	6, 0x0
	.amdhsa_kernel _ZN2at6native12_GLOBAL__N_143distribution_elementwise_grid_stride_kernelIfLi4EZNS0_9templates4cuda21uniform_and_transformIhfPNS_17CUDAGeneratorImplEZZZNS4_16geometric_kernelIS7_EEvRNS_18TensorIteratorBaseEdT_ENKUlvE_clEvENKUlvE_clEvEUlfE_EEvSA_T1_T2_EUlP25hiprandStatePhilox4_32_10E_ZNS1_27distribution_nullary_kernelIhf15HIP_vector_typeIdLj2EES7_SJ_SE_EEvSA_SG_RKT3_T4_EUlifE_EEvlNS_15PhiloxCudaStateESF_SG_
		.amdhsa_group_segment_fixed_size 0
		.amdhsa_private_segment_fixed_size 0
		.amdhsa_kernarg_size 328
		.amdhsa_user_sgpr_count 6
		.amdhsa_user_sgpr_private_segment_buffer 1
		.amdhsa_user_sgpr_dispatch_ptr 0
		.amdhsa_user_sgpr_queue_ptr 0
		.amdhsa_user_sgpr_kernarg_segment_ptr 1
		.amdhsa_user_sgpr_dispatch_id 0
		.amdhsa_user_sgpr_flat_scratch_init 0
		.amdhsa_user_sgpr_kernarg_preload_length 0
		.amdhsa_user_sgpr_kernarg_preload_offset 0
		.amdhsa_user_sgpr_private_segment_size 0
		.amdhsa_uses_dynamic_stack 0
		.amdhsa_system_sgpr_private_segment_wavefront_offset 0
		.amdhsa_system_sgpr_workgroup_id_x 1
		.amdhsa_system_sgpr_workgroup_id_y 0
		.amdhsa_system_sgpr_workgroup_id_z 0
		.amdhsa_system_sgpr_workgroup_info 0
		.amdhsa_system_vgpr_workitem_id 0
		.amdhsa_next_free_vgpr 52
		.amdhsa_next_free_sgpr 26
		.amdhsa_accum_offset 52
		.amdhsa_reserve_vcc 1
		.amdhsa_reserve_flat_scratch 0
		.amdhsa_float_round_mode_32 0
		.amdhsa_float_round_mode_16_64 0
		.amdhsa_float_denorm_mode_32 3
		.amdhsa_float_denorm_mode_16_64 3
		.amdhsa_dx10_clamp 1
		.amdhsa_ieee_mode 1
		.amdhsa_fp16_overflow 0
		.amdhsa_tg_split 0
		.amdhsa_exception_fp_ieee_invalid_op 0
		.amdhsa_exception_fp_denorm_src 0
		.amdhsa_exception_fp_ieee_div_zero 0
		.amdhsa_exception_fp_ieee_overflow 0
		.amdhsa_exception_fp_ieee_underflow 0
		.amdhsa_exception_fp_ieee_inexact 0
		.amdhsa_exception_int_div_zero 0
	.end_amdhsa_kernel
	.section	.text._ZN2at6native12_GLOBAL__N_143distribution_elementwise_grid_stride_kernelIfLi4EZNS0_9templates4cuda21uniform_and_transformIhfPNS_17CUDAGeneratorImplEZZZNS4_16geometric_kernelIS7_EEvRNS_18TensorIteratorBaseEdT_ENKUlvE_clEvENKUlvE_clEvEUlfE_EEvSA_T1_T2_EUlP25hiprandStatePhilox4_32_10E_ZNS1_27distribution_nullary_kernelIhf15HIP_vector_typeIdLj2EES7_SJ_SE_EEvSA_SG_RKT3_T4_EUlifE_EEvlNS_15PhiloxCudaStateESF_SG_,"axG",@progbits,_ZN2at6native12_GLOBAL__N_143distribution_elementwise_grid_stride_kernelIfLi4EZNS0_9templates4cuda21uniform_and_transformIhfPNS_17CUDAGeneratorImplEZZZNS4_16geometric_kernelIS7_EEvRNS_18TensorIteratorBaseEdT_ENKUlvE_clEvENKUlvE_clEvEUlfE_EEvSA_T1_T2_EUlP25hiprandStatePhilox4_32_10E_ZNS1_27distribution_nullary_kernelIhf15HIP_vector_typeIdLj2EES7_SJ_SE_EEvSA_SG_RKT3_T4_EUlifE_EEvlNS_15PhiloxCudaStateESF_SG_,comdat
.Lfunc_end0:
	.size	_ZN2at6native12_GLOBAL__N_143distribution_elementwise_grid_stride_kernelIfLi4EZNS0_9templates4cuda21uniform_and_transformIhfPNS_17CUDAGeneratorImplEZZZNS4_16geometric_kernelIS7_EEvRNS_18TensorIteratorBaseEdT_ENKUlvE_clEvENKUlvE_clEvEUlfE_EEvSA_T1_T2_EUlP25hiprandStatePhilox4_32_10E_ZNS1_27distribution_nullary_kernelIhf15HIP_vector_typeIdLj2EES7_SJ_SE_EEvSA_SG_RKT3_T4_EUlifE_EEvlNS_15PhiloxCudaStateESF_SG_, .Lfunc_end0-_ZN2at6native12_GLOBAL__N_143distribution_elementwise_grid_stride_kernelIfLi4EZNS0_9templates4cuda21uniform_and_transformIhfPNS_17CUDAGeneratorImplEZZZNS4_16geometric_kernelIS7_EEvRNS_18TensorIteratorBaseEdT_ENKUlvE_clEvENKUlvE_clEvEUlfE_EEvSA_T1_T2_EUlP25hiprandStatePhilox4_32_10E_ZNS1_27distribution_nullary_kernelIhf15HIP_vector_typeIdLj2EES7_SJ_SE_EEvSA_SG_RKT3_T4_EUlifE_EEvlNS_15PhiloxCudaStateESF_SG_
                                        ; -- End function
	.section	.AMDGPU.csdata,"",@progbits
; Kernel info:
; codeLenInByte = 3480
; NumSgprs: 30
; NumVgprs: 52
; NumAgprs: 0
; TotalNumVgprs: 52
; ScratchSize: 0
; MemoryBound: 0
; FloatMode: 240
; IeeeMode: 1
; LDSByteSize: 0 bytes/workgroup (compile time only)
; SGPRBlocks: 3
; VGPRBlocks: 6
; NumSGPRsForWavesPerEU: 30
; NumVGPRsForWavesPerEU: 52
; AccumOffset: 52
; Occupancy: 8
; WaveLimiterHint : 0
; COMPUTE_PGM_RSRC2:SCRATCH_EN: 0
; COMPUTE_PGM_RSRC2:USER_SGPR: 6
; COMPUTE_PGM_RSRC2:TRAP_HANDLER: 0
; COMPUTE_PGM_RSRC2:TGID_X_EN: 1
; COMPUTE_PGM_RSRC2:TGID_Y_EN: 0
; COMPUTE_PGM_RSRC2:TGID_Z_EN: 0
; COMPUTE_PGM_RSRC2:TIDIG_COMP_CNT: 0
; COMPUTE_PGM_RSRC3_GFX90A:ACCUM_OFFSET: 12
; COMPUTE_PGM_RSRC3_GFX90A:TG_SPLIT: 0
	.section	.text._ZN2at6native12_GLOBAL__N_143distribution_elementwise_grid_stride_kernelIfLi4EZNS0_9templates4cuda21uniform_and_transformIhfPNS_17CUDAGeneratorImplEZZZNS4_16geometric_kernelIS7_EEvRNS_18TensorIteratorBaseEdT_ENKUlvE_clEvENKUlvE_clEvEUlfE_EEvSA_T1_T2_EUlP25hiprandStatePhilox4_32_10E_ZNS1_27distribution_nullary_kernelIhf15HIP_vector_typeIdLj2EES7_SJ_SE_EEvSA_SG_RKT3_T4_EUlifE0_EEvlNS_15PhiloxCudaStateESF_SG_,"axG",@progbits,_ZN2at6native12_GLOBAL__N_143distribution_elementwise_grid_stride_kernelIfLi4EZNS0_9templates4cuda21uniform_and_transformIhfPNS_17CUDAGeneratorImplEZZZNS4_16geometric_kernelIS7_EEvRNS_18TensorIteratorBaseEdT_ENKUlvE_clEvENKUlvE_clEvEUlfE_EEvSA_T1_T2_EUlP25hiprandStatePhilox4_32_10E_ZNS1_27distribution_nullary_kernelIhf15HIP_vector_typeIdLj2EES7_SJ_SE_EEvSA_SG_RKT3_T4_EUlifE0_EEvlNS_15PhiloxCudaStateESF_SG_,comdat
	.globl	_ZN2at6native12_GLOBAL__N_143distribution_elementwise_grid_stride_kernelIfLi4EZNS0_9templates4cuda21uniform_and_transformIhfPNS_17CUDAGeneratorImplEZZZNS4_16geometric_kernelIS7_EEvRNS_18TensorIteratorBaseEdT_ENKUlvE_clEvENKUlvE_clEvEUlfE_EEvSA_T1_T2_EUlP25hiprandStatePhilox4_32_10E_ZNS1_27distribution_nullary_kernelIhf15HIP_vector_typeIdLj2EES7_SJ_SE_EEvSA_SG_RKT3_T4_EUlifE0_EEvlNS_15PhiloxCudaStateESF_SG_ ; -- Begin function _ZN2at6native12_GLOBAL__N_143distribution_elementwise_grid_stride_kernelIfLi4EZNS0_9templates4cuda21uniform_and_transformIhfPNS_17CUDAGeneratorImplEZZZNS4_16geometric_kernelIS7_EEvRNS_18TensorIteratorBaseEdT_ENKUlvE_clEvENKUlvE_clEvEUlfE_EEvSA_T1_T2_EUlP25hiprandStatePhilox4_32_10E_ZNS1_27distribution_nullary_kernelIhf15HIP_vector_typeIdLj2EES7_SJ_SE_EEvSA_SG_RKT3_T4_EUlifE0_EEvlNS_15PhiloxCudaStateESF_SG_
	.p2align	8
	.type	_ZN2at6native12_GLOBAL__N_143distribution_elementwise_grid_stride_kernelIfLi4EZNS0_9templates4cuda21uniform_and_transformIhfPNS_17CUDAGeneratorImplEZZZNS4_16geometric_kernelIS7_EEvRNS_18TensorIteratorBaseEdT_ENKUlvE_clEvENKUlvE_clEvEUlfE_EEvSA_T1_T2_EUlP25hiprandStatePhilox4_32_10E_ZNS1_27distribution_nullary_kernelIhf15HIP_vector_typeIdLj2EES7_SJ_SE_EEvSA_SG_RKT3_T4_EUlifE0_EEvlNS_15PhiloxCudaStateESF_SG_,@function
_ZN2at6native12_GLOBAL__N_143distribution_elementwise_grid_stride_kernelIfLi4EZNS0_9templates4cuda21uniform_and_transformIhfPNS_17CUDAGeneratorImplEZZZNS4_16geometric_kernelIS7_EEvRNS_18TensorIteratorBaseEdT_ENKUlvE_clEvENKUlvE_clEvEUlfE_EEvSA_T1_T2_EUlP25hiprandStatePhilox4_32_10E_ZNS1_27distribution_nullary_kernelIhf15HIP_vector_typeIdLj2EES7_SJ_SE_EEvSA_SG_RKT3_T4_EUlifE0_EEvlNS_15PhiloxCudaStateESF_SG_: ; @_ZN2at6native12_GLOBAL__N_143distribution_elementwise_grid_stride_kernelIfLi4EZNS0_9templates4cuda21uniform_and_transformIhfPNS_17CUDAGeneratorImplEZZZNS4_16geometric_kernelIS7_EEvRNS_18TensorIteratorBaseEdT_ENKUlvE_clEvENKUlvE_clEvEUlfE_EEvSA_T1_T2_EUlP25hiprandStatePhilox4_32_10E_ZNS1_27distribution_nullary_kernelIhf15HIP_vector_typeIdLj2EES7_SJ_SE_EEvSA_SG_RKT3_T4_EUlifE0_EEvlNS_15PhiloxCudaStateESF_SG_
; %bb.0:
	s_load_dword s2, s[4:5], 0x20
	s_load_dwordx2 s[0:1], s[4:5], 0x10
	s_load_dwordx4 s[24:27], s[4:5], 0x0
	s_waitcnt lgkmcnt(0)
	s_bitcmp0_b32 s2, 0
	s_mov_b32 s2, 0
	v_pk_mov_b32 v[2:3], s[0:1], s[0:1] op_sel:[0,1]
	v_pk_mov_b32 v[10:11], s[26:27], s[26:27] op_sel:[0,1]
	s_cbranch_scc1 .LBB1_2
; %bb.1:
	v_pk_mov_b32 v[2:3], s[0:1], s[0:1] op_sel:[0,1]
	flat_load_dwordx2 v[2:3], v[2:3]
	v_pk_mov_b32 v[4:5], s[26:27], s[26:27] op_sel:[0,1]
	flat_load_dwordx2 v[10:11], v[4:5]
	s_load_dwordx2 s[0:1], s[4:5], 0x18
	s_waitcnt lgkmcnt(0)
	v_mov_b32_e32 v1, s1
	s_waitcnt vmcnt(0)
	v_add_co_u32_e32 v2, vcc, s0, v2
	v_addc_co_u32_e32 v3, vcc, v3, v1, vcc
.LBB1_2:
	s_load_dword s0, s[4:5], 0x154
	s_load_dword s7, s[4:5], 0x148
	s_waitcnt lgkmcnt(0)
	s_and_b32 s8, s0, 0xffff
	s_add_u32 s9, s24, -1
	s_mul_i32 s33, s7, s8
	s_addc_u32 s3, s25, -1
	s_lshl_b32 s58, s33, 2
	s_cmp_lg_u64 s[2:3], 0
	s_mov_b64 s[0:1], -1
	s_cbranch_scc0 .LBB1_83
; %bb.3:
	v_cvt_f32_u32_e32 v1, s58
	v_cvt_f32_ubyte0_e32 v4, 0
	s_sub_u32 s2, 0, s58
	s_subb_u32 s10, 0, 0
	v_madmk_f32 v1, v4, 0x4f800000, v1
	v_rcp_f32_e32 v1, v1
	v_mul_f32_e32 v1, 0x5f7ffffc, v1
	v_mul_f32_e32 v4, 0x2f800000, v1
	v_trunc_f32_e32 v4, v4
	v_madmk_f32 v1, v4, 0xcf800000, v1
	v_cvt_u32_f32_e32 v4, v4
	v_cvt_u32_f32_e32 v1, v1
	v_readfirstlane_b32 s11, v4
	v_readfirstlane_b32 s12, v1
	s_mul_i32 s13, s2, s11
	s_mul_hi_u32 s15, s2, s12
	s_mul_i32 s14, s10, s12
	s_add_i32 s13, s15, s13
	s_add_i32 s13, s13, s14
	s_mul_i32 s16, s2, s12
	s_mul_hi_u32 s14, s12, s13
	s_mul_i32 s15, s12, s13
	s_mul_hi_u32 s12, s12, s16
	s_add_u32 s12, s12, s15
	s_addc_u32 s14, 0, s14
	s_mul_hi_u32 s17, s11, s16
	s_mul_i32 s16, s11, s16
	s_add_u32 s12, s12, s16
	s_mul_hi_u32 s15, s11, s13
	s_addc_u32 s12, s14, s17
	s_addc_u32 s14, s15, 0
	s_mul_i32 s13, s11, s13
	s_add_u32 s12, s12, s13
	s_addc_u32 s13, 0, s14
	v_add_co_u32_e32 v1, vcc, s12, v1
	s_cmp_lg_u64 vcc, 0
	s_addc_u32 s11, s11, s13
	v_readfirstlane_b32 s13, v1
	s_mul_i32 s12, s2, s11
	s_mul_hi_u32 s14, s2, s13
	s_add_i32 s12, s14, s12
	s_mul_i32 s10, s10, s13
	s_add_i32 s12, s12, s10
	s_mul_i32 s2, s2, s13
	s_mul_hi_u32 s14, s11, s2
	s_mul_i32 s15, s11, s2
	s_mul_i32 s17, s13, s12
	s_mul_hi_u32 s2, s13, s2
	s_mul_hi_u32 s16, s13, s12
	s_add_u32 s2, s2, s17
	s_addc_u32 s13, 0, s16
	s_add_u32 s2, s2, s15
	s_mul_hi_u32 s10, s11, s12
	s_addc_u32 s2, s13, s14
	s_addc_u32 s10, s10, 0
	s_mul_i32 s12, s11, s12
	s_add_u32 s2, s2, s12
	s_addc_u32 s10, 0, s10
	v_add_co_u32_e32 v1, vcc, s2, v1
	s_cmp_lg_u64 vcc, 0
	s_addc_u32 s12, s11, s10
	s_ashr_i32 s10, s3, 31
	s_add_u32 s2, s9, s10
	s_mov_b32 s11, s10
	s_addc_u32 s3, s3, s10
	s_xor_b64 s[2:3], s[2:3], s[10:11]
	v_readfirstlane_b32 s15, v1
	s_mul_i32 s14, s2, s12
	s_mul_hi_u32 s16, s2, s15
	s_mul_hi_u32 s13, s2, s12
	s_add_u32 s14, s16, s14
	s_addc_u32 s13, 0, s13
	s_mul_hi_u32 s17, s3, s15
	s_mul_i32 s15, s3, s15
	s_add_u32 s14, s14, s15
	s_mul_hi_u32 s16, s3, s12
	s_addc_u32 s13, s13, s17
	s_addc_u32 s14, s16, 0
	s_mul_i32 s12, s3, s12
	s_add_u32 s12, s13, s12
	s_addc_u32 s13, 0, s14
	s_add_u32 s14, s12, 1
	s_addc_u32 s15, s13, 0
	s_add_u32 s16, s12, 2
	s_mul_i32 s18, s58, s13
	s_mul_hi_u32 s19, s58, s12
	s_addc_u32 s17, s13, 0
	s_add_i32 s19, s19, s18
	s_mul_i32 s18, s58, s12
	v_mov_b32_e32 v1, s18
	v_sub_co_u32_e32 v1, vcc, s2, v1
	s_cmp_lg_u64 vcc, 0
	s_subb_u32 s2, s3, s19
	v_subrev_co_u32_e32 v4, vcc, s58, v1
	s_cmp_lg_u64 vcc, 0
	s_subb_u32 s3, s2, 0
	v_readfirstlane_b32 s18, v4
	s_cmp_ge_u32 s18, s58
	s_cselect_b32 s18, -1, 0
	s_cmp_eq_u32 s3, 0
	s_cselect_b32 s3, s18, -1
	s_cmp_lg_u32 s3, 0
	s_cselect_b32 s3, s17, s15
	v_readfirstlane_b32 s15, v1
	s_cselect_b32 s14, s16, s14
	s_cmp_ge_u32 s15, s58
	s_cselect_b32 s15, -1, 0
	s_cmp_eq_u32 s2, 0
	s_cselect_b32 s2, s15, -1
	s_cmp_lg_u32 s2, 0
	s_cselect_b32 s3, s3, s13
	s_cselect_b32 s2, s14, s12
	s_xor_b64 s[2:3], s[2:3], s[10:11]
	s_sub_u32 s2, s2, s10
	s_subb_u32 s3, s3, s10
	s_cbranch_execnz .LBB1_5
.LBB1_4:
	v_cvt_f32_u32_e32 v1, s58
	s_sub_i32 s0, 0, s58
	s_mov_b32 s3, 0
	v_rcp_iflag_f32_e32 v1, v1
	v_mul_f32_e32 v1, 0x4f7ffffe, v1
	v_cvt_u32_f32_e32 v1, v1
	v_readfirstlane_b32 s1, v1
	s_mul_i32 s0, s0, s1
	s_mul_hi_u32 s0, s1, s0
	s_add_i32 s1, s1, s0
	s_mul_hi_u32 s0, s9, s1
	s_mul_i32 s2, s0, s58
	s_sub_i32 s2, s9, s2
	s_add_i32 s1, s0, 1
	s_sub_i32 s9, s2, s58
	s_cmp_ge_u32 s2, s58
	s_cselect_b32 s0, s1, s0
	s_cselect_b32 s2, s9, s2
	s_add_i32 s1, s0, 1
	s_cmp_ge_u32 s2, s58
	s_cselect_b32 s2, s1, s0
.LBB1_5:
	v_mov_b32_e32 v1, 0
	v_mov_b32_e32 v4, s6
	v_mad_u64_u32 v[12:13], s[0:1], s8, v4, v[0:1]
	s_add_u32 s0, s2, 1
	s_addc_u32 s1, s3, 0
	s_mul_hi_u32 s2, s7, s8
	s_mul_i32 s1, s33, s1
	s_mul_hi_u32 s3, s33, s0
	s_add_i32 s1, s3, s1
	s_mul_i32 s2, s2, s0
	s_add_i32 s1, s1, s2
	s_mul_i32 s0, s33, s0
	s_lshl_b64 s[26:27], s[0:1], 2
	v_cmp_gt_i64_e32 vcc, s[26:27], v[12:13]
	s_and_saveexec_b64 s[0:1], vcc
	s_cbranch_execz .LBB1_82
; %bb.6:
	s_mov_b32 s0, 0x5384540f
	v_mov_b32_e32 v0, v11
	v_add_co_u32_e32 v20, vcc, s0, v10
	s_mov_b32 s0, 0x646e171e
	v_add_co_u32_e32 v21, vcc, s0, v0
	s_mov_b32 s0, 0x1715609d
	;; [unrolled: 2-line block ×6, first 2 shown]
	v_alignbit_b32 v27, v3, v2, 2
	s_mov_b32 s60, 0xd2511f53
	v_add_co_u32_e32 v26, vcc, s0, v10
	v_mad_u64_u32 v[4:5], s[0:1], v27, s60, 0
	v_xor_b32_e32 v1, v5, v11
	v_xor_b32_e32 v1, v1, v13
	s_mov_b32 s61, 0xcd9e8d57
	v_mad_u64_u32 v[6:7], s[0:1], v1, s61, 0
	v_xor_b32_e32 v1, v26, v7
	v_mad_u64_u32 v[8:9], s[0:1], v12, s61, 0
	v_and_b32_e32 v16, 3, v2
	v_xor_b32_e32 v1, v1, v8
	v_xor_b32_e32 v2, v10, v9
	v_lshrrev_b32_e32 v28, 2, v3
	v_mad_u64_u32 v[14:15], s[0:1], v1, s60, 0
	v_xor_b32_e32 v2, v2, v28
	v_xor_b32_e32 v1, v25, v15
	v_mad_u64_u32 v[2:3], s[0:1], v2, s60, 0
	v_xor_b32_e32 v1, v1, v2
	v_mad_u64_u32 v[8:9], s[0:1], v1, s61, 0
	s_mov_b32 s0, 0xbb67ae85
	v_add_co_u32_e32 v29, vcc, s0, v0
	v_xor_b32_e32 v2, v29, v3
	v_xor_b32_e32 v2, v2, v4
	v_xor_b32_e32 v1, v24, v9
	v_mad_u64_u32 v[2:3], s[0:1], v2, s61, 0
	v_xor_b32_e32 v1, v1, v2
	v_mad_u64_u32 v[4:5], s[0:1], v1, s60, 0
	s_mov_b32 s0, 0x3c6ef372
	v_add_co_u32_e32 v30, vcc, s0, v10
	v_xor_b32_e32 v2, v30, v3
	;; [unrolled: 8-line block ×6, first 2 shown]
	v_add_co_u32_e32 v19, vcc, 0xdb3d7428, v0
	v_xor_b32_e32 v2, v2, v6
	v_xor_b32_e32 v1, v19, v39
	v_mad_u64_u32 v[2:3], s[0:1], v2, s60, 0
	v_xor_b32_e32 v1, v1, v2
	v_mad_u64_u32 v[40:41], s[0:1], v1, s61, 0
	s_mov_b32 s0, 0x1fd5c5a3
	v_add_co_u32_e32 v35, vcc, s0, v0
	v_xor_b32_e32 v0, v35, v3
	v_xor_b32_e32 v0, v0, v14
	s_load_dwordx2 s[46:47], s[4:5], 0xf4
	s_load_dwordx4 s[28:31], s[4:5], 0x138
	v_mad_u64_u32 v[0:1], s[0:1], v0, s61, 0
	s_mov_b32 s0, 0xf1bbcdc8
	v_add_u32_e32 v17, 0x8ff34781, v10
	v_xor_b32_e32 v0, v41, v0
	v_add_co_u32_e32 v36, vcc, s0, v10
	v_xor_b32_e32 v4, v17, v0
	v_xor_b32_e32 v0, v36, v1
	;; [unrolled: 1-line block ×3, first 2 shown]
	s_waitcnt lgkmcnt(0)
	v_cvt_f32_f64_e32 v2, s[30:31]
	v_mad_u64_u32 v[0:1], s[0:1], v0, s60, 0
	v_sub_f32_e32 v3, 1.0, v2
	v_add_u32_e32 v18, 0x96a522ad, v11
	v_xor_b32_e32 v1, v1, v38
	v_mov_b32_e32 v7, v0
	v_add_f32_e32 v0, -1.0, v3
	v_xor_b32_e32 v6, v18, v1
	v_sub_f32_e32 v1, v0, v3
	v_add_f32_e32 v1, 1.0, v1
	v_sub_f32_e64 v0, -v2, v0
	v_add_f32_e32 v8, v0, v1
	v_frexp_mant_f32_e32 v9, v3
	s_mov_b32 s2, 0x3f2aaaab
	v_cvt_f64_f32_e32 v[0:1], v3
	v_frexp_exp_i32_f64_e32 v0, v[0:1]
	v_cmp_gt_f32_e32 vcc, s2, v9
	v_subbrev_co_u32_e32 v0, vcc, 0, v0, vcc
	v_sub_u32_e32 v1, 0, v0
	v_ldexp_f32 v3, v3, v1
	v_ldexp_f32 v1, v8, v1
	v_add_f32_e32 v8, -1.0, v3
	v_add_f32_e32 v15, 1.0, v3
	v_add_f32_e32 v9, 1.0, v8
	v_add_f32_e32 v37, -1.0, v15
	v_sub_f32_e32 v9, v3, v9
	v_sub_f32_e32 v3, v3, v37
	v_add_f32_e32 v9, v1, v9
	v_add_f32_e32 v1, v1, v3
	;; [unrolled: 1-line block ×3, first 2 shown]
	v_rcp_f32_e32 v37, v3
	v_add_f32_e32 v14, v8, v9
	v_sub_f32_e32 v8, v14, v8
	v_sub_f32_e32 v8, v9, v8
	;; [unrolled: 1-line block ×4, first 2 shown]
	v_mul_f32_e32 v9, v14, v37
	v_mul_f32_e32 v15, v3, v9
	v_fma_f32 v38, v9, v3, -v15
	v_fmac_f32_e32 v38, v9, v1
	v_add_f32_e32 v39, v15, v38
	v_mov_b32_e32 v5, v40
	v_sub_f32_e32 v40, v14, v39
	v_sub_f32_e32 v14, v14, v40
	;; [unrolled: 1-line block ×4, first 2 shown]
	v_add_f32_e32 v8, v8, v14
	v_sub_f32_e32 v14, v15, v38
	v_add_f32_e32 v8, v14, v8
	v_add_f32_e32 v14, v40, v8
	v_mul_f32_e32 v15, v37, v14
	v_mul_f32_e32 v38, v3, v15
	v_fma_f32 v3, v15, v3, -v38
	v_fmac_f32_e32 v3, v15, v1
	v_sub_f32_e32 v1, v40, v14
	v_add_f32_e32 v1, v8, v1
	v_add_f32_e32 v8, v38, v3
	v_sub_f32_e32 v39, v14, v8
	v_sub_f32_e32 v14, v14, v39
	;; [unrolled: 1-line block ×4, first 2 shown]
	v_add_f32_e32 v1, v1, v8
	v_sub_f32_e32 v3, v38, v3
	v_add_f32_e32 v1, v3, v1
	v_add_f32_e32 v3, v9, v15
	;; [unrolled: 1-line block ×3, first 2 shown]
	v_sub_f32_e32 v8, v3, v9
	v_mul_f32_e32 v1, v37, v1
	v_sub_f32_e32 v8, v15, v8
	v_add_f32_e32 v1, v8, v1
	v_cvt_f32_i32_e32 v0, v0
	v_add_f32_e32 v8, v3, v1
	v_mul_f32_e32 v9, v8, v8
	v_mov_b32_e32 v14, 0x3ecc95a3
	v_fmac_f32_e32 v14, 0x3e9b6dac, v9
	v_mov_b32_e32 v15, 0x3f2aaada
	v_fmac_f32_e32 v15, v9, v14
	s_mov_b32 s2, 0x3f317218
	v_mul_f32_e32 v14, 0x3f317218, v0
	v_fma_f32 v37, v0, s2, -v14
	v_fmac_f32_e32 v37, 0xb102e308, v0
	v_sub_f32_e32 v0, v8, v3
	v_sub_f32_e32 v0, v1, v0
	v_add_f32_e32 v1, v14, v37
	v_sub_f32_e32 v3, v1, v14
	v_ldexp_f32 v14, v8, 1
	v_mul_f32_e32 v8, v8, v9
	v_mul_f32_e32 v8, v8, v15
	v_add_f32_e32 v9, v14, v8
	v_sub_f32_e32 v14, v9, v14
	v_ldexp_f32 v0, v0, 1
	v_sub_f32_e32 v8, v8, v14
	v_add_f32_e32 v0, v0, v8
	v_add_f32_e32 v8, v9, v0
	v_sub_f32_e32 v9, v8, v9
	v_sub_f32_e32 v0, v0, v9
	v_add_f32_e32 v9, v1, v8
	v_sub_f32_e32 v14, v9, v1
	v_sub_f32_e32 v15, v9, v14
	;; [unrolled: 1-line block ×5, first 2 shown]
	v_add_f32_e32 v1, v8, v1
	v_add_f32_e32 v8, v3, v0
	v_sub_f32_e32 v14, v8, v3
	v_sub_f32_e32 v15, v8, v14
	;; [unrolled: 1-line block ×4, first 2 shown]
	v_add_f32_e32 v1, v8, v1
	v_add_f32_e32 v0, v0, v3
	;; [unrolled: 1-line block ×3, first 2 shown]
	s_load_dwordx8 s[8:15], s[4:5], 0x30
	v_sub_f32_e32 v8, v3, v9
	v_sub_f32_e32 v1, v1, v8
	v_add_f32_e32 v0, v0, v1
	s_mov_b32 s2, 0xff800000
	v_add_f32_e32 v0, v3, v0
	v_cmp_eq_f32_e32 vcc, s2, v2
	s_add_u32 s34, s4, 48
	v_cndmask_b32_e64 v0, v0, -v2, vcc
	v_mov_b32_e32 v1, 0x7fc00000
	v_cmp_nlt_f32_e32 vcc, 1.0, v2
	s_addc_u32 s35, s5, 0
	s_waitcnt lgkmcnt(0)
	s_add_i32 s0, s8, -1
	v_cndmask_b32_e32 v0, v1, v0, vcc
	v_mov_b32_e32 v1, 0xff800000
	v_cmp_neq_f32_e32 vcc, 1.0, v2
	s_cmp_gt_u32 s0, 1
	v_cndmask_b32_e32 v0, v1, v0, vcc
	v_log_f32_e32 v1, s0
	s_cselect_b64 s[40:41], -1, 0
	s_cmp_lg_u32 s8, 0
	s_cselect_b64 s[42:43], -1, 0
	s_add_u32 s44, s4, 0xf4
	s_mov_b32 s2, 0x33800000
	s_addc_u32 s45, s5, 0
	s_min_u32 s1, s0, 15
	v_cmp_lt_f32_e64 s[2:3], |v2|, s2
	s_cmp_gt_u32 s8, 1
	v_cndmask_b32_e64 v37, v0, -v2, s[2:3]
	s_mov_b32 s8, 0x3f317217
	v_mul_f32_e32 v0, 0x3f317217, v1
	v_fma_f32 v2, v1, s8, -v0
	v_fmac_f32_e32 v2, 0x3377d1cf, v1
	s_mov_b32 s15, 0x7f800000
	v_add_f32_e32 v0, v0, v2
	v_cmp_lt_f32_e64 vcc, |v1|, s15
	v_cndmask_b32_e32 v0, v1, v0, vcc
	v_div_scale_f32 v1, s[2:3], v37, v37, v0
	v_rcp_f32_e32 v2, v1
	s_cselect_b64 s[48:49], -1, 0
	s_add_i32 s1, s1, 1
	s_lshl_b32 s62, s33, 1
	v_fma_f32 v3, -v1, v2, 1.0
	v_fmac_f32_e32 v2, v3, v2
	v_div_scale_f32 v3, vcc, v0, v37, v0
	v_mul_f32_e32 v8, v3, v2
	v_fma_f32 v9, -v1, v8, v3
	v_fmac_f32_e32 v8, v9, v2
	v_fma_f32 v1, -v1, v8, v3
	v_div_fmas_f32 v1, v1, v2, v8
	v_div_fixup_f32 v0, v1, v37, v0
	v_ceil_f32_e32 v0, v0
	s_and_b32 s66, s1, 3
	v_cvt_i32_f32_e32 v38, v0
	s_cmp_lg_u32 s0, 2
	s_cselect_b64 s[30:31], -1, 0
	s_and_b32 s67, s1, 28
	s_mov_b32 s59, 0
	s_cmp_lg_u32 s66, 0
	s_mov_b32 s63, s59
	s_mul_i32 s64, s33, 3
	s_mov_b32 s65, s59
	s_mov_b64 s[50:51], 0
	s_cselect_b64 s[52:53], -1, 0
	s_mov_b32 s68, 0x800000
	v_mov_b32_e32 v39, 0x4f800000
	v_mov_b32_e32 v40, 0x41b17218
	;; [unrolled: 1-line block ×4, first 2 shown]
	s_branch .LBB1_9
.LBB1_7:                                ;   in Loop: Header=BB1_9 Depth=1
	global_store_byte v6, v38, s[28:29]
.LBB1_8:                                ;   in Loop: Header=BB1_9 Depth=1
	s_or_b64 exec, exec, s[36:37]
	v_add_co_u32_e32 v12, vcc, s58, v12
	v_mov_b32_e32 v3, v14
	v_addc_co_u32_e32 v13, vcc, 0, v13, vcc
	v_cmp_le_i64_e32 vcc, s[26:27], v[12:13]
	v_pk_mov_b32 v[6:7], v[2:3], v[2:3] op_sel:[0,1]
	s_or_b64 s[50:51], vcc, s[50:51]
	v_pk_mov_b32 v[4:5], v[0:1], v[0:1] op_sel:[0,1]
	s_barrier
	s_andn2_b64 exec, exec, s[50:51]
	s_cbranch_execz .LBB1_82
.LBB1_9:                                ; =>This Loop Header: Depth=1
                                        ;     Child Loop BB1_24 Depth 2
                                        ;     Child Loop BB1_30 Depth 2
	;; [unrolled: 1-line block ×8, first 2 shown]
	v_add_co_u32_e32 v27, vcc, 1, v27
	v_cndmask_b32_e64 v0, 0, 1, vcc
	v_addc_co_u32_e32 v28, vcc, 0, v28, vcc
	v_cmp_eq_u32_e32 vcc, 0, v28
	v_cndmask_b32_e32 v0, 0, v0, vcc
	v_add_u32_e32 v41, v0, v41
	v_cmp_eq_u32_e32 vcc, 0, v41
	v_cndmask_b32_e32 v0, 0, v0, vcc
	v_add_u32_e32 v42, v0, v42
	v_mad_u64_u32 v[0:1], s[0:1], v27, s60, 0
	v_mad_u64_u32 v[2:3], s[0:1], v41, s61, 0
	v_xor_b32_e32 v1, v1, v11
	v_xor_b32_e32 v3, v3, v10
	v_xor_b32_e32 v1, v42, v1
	v_xor_b32_e32 v3, v28, v3
	v_mad_u64_u32 v[14:15], s[0:1], v1, s61, 0
	v_mad_u64_u32 v[8:9], s[0:1], v3, s60, 0
	v_xor_b32_e32 v1, v26, v15
	v_xor_b32_e32 v1, v1, v2
	v_xor_b32_e32 v2, v29, v9
	v_xor_b32_e32 v2, v2, v0
	;; [unrolled: 6-line block ×10, first 2 shown]
	v_mov_b32_e32 v1, v8
	v_mov_b32_e32 v2, v9
	v_cmp_lt_i32_e32 vcc, 1, v16
	s_and_saveexec_b64 s[0:1], vcc
	s_xor_b64 s[0:1], exec, s[0:1]
	s_cbranch_execz .LBB1_15
; %bb.10:                               ;   in Loop: Header=BB1_9 Depth=1
	v_cmp_lt_i32_e32 vcc, 2, v16
	s_and_saveexec_b64 s[2:3], vcc
	s_xor_b64 s[2:3], exec, s[2:3]
; %bb.11:                               ;   in Loop: Header=BB1_9 Depth=1
	v_mov_b32_e32 v6, v7
	v_mov_b32_e32 v7, v0
	v_pk_mov_b32 v[4:5], v[6:7], v[6:7] op_sel:[0,1]
	v_pk_mov_b32 v[6:7], v[8:9], v[8:9] op_sel:[0,1]
                                        ; implicit-def: $vgpr8_vgpr9
; %bb.12:                               ;   in Loop: Header=BB1_9 Depth=1
	s_andn2_saveexec_b64 s[2:3], s[2:3]
; %bb.13:                               ;   in Loop: Header=BB1_9 Depth=1
	v_mov_b32_e32 v4, v6
	v_mov_b32_e32 v5, v7
	;; [unrolled: 1-line block ×4, first 2 shown]
; %bb.14:                               ;   in Loop: Header=BB1_9 Depth=1
	s_or_b64 exec, exec, s[2:3]
.LBB1_15:                               ;   in Loop: Header=BB1_9 Depth=1
	s_andn2_saveexec_b64 s[0:1], s[0:1]
	s_cbranch_execz .LBB1_19
; %bb.16:                               ;   in Loop: Header=BB1_9 Depth=1
	v_cmp_eq_u32_e32 vcc, 1, v16
	s_and_saveexec_b64 s[2:3], vcc
; %bb.17:                               ;   in Loop: Header=BB1_9 Depth=1
	v_mov_b32_e32 v4, v5
	v_mov_b32_e32 v5, v6
	v_mov_b32_e32 v6, v7
	v_mov_b32_e32 v7, v0
; %bb.18:                               ;   in Loop: Header=BB1_9 Depth=1
	s_or_b64 exec, exec, s[2:3]
.LBB1_19:                               ;   in Loop: Header=BB1_9 Depth=1
	s_or_b64 exec, exec, s[0:1]
	v_cndmask_b32_e64 v3, 0, 1, s[40:41]
	v_cmp_gt_i64_e32 vcc, s[24:25], v[12:13]
	v_cmp_ne_u32_e64 s[0:1], 1, v3
	s_and_saveexec_b64 s[54:55], vcc
	s_cbranch_execz .LBB1_35
; %bb.20:                               ;   in Loop: Header=BB1_9 Depth=1
	s_and_b64 vcc, exec, s[0:1]
	s_cbranch_vccnz .LBB1_26
; %bb.21:                               ;   in Loop: Header=BB1_9 Depth=1
	s_andn2_b64 vcc, exec, s[42:43]
	s_cbranch_vccnz .LBB1_27
; %bb.22:                               ;   in Loop: Header=BB1_9 Depth=1
	s_mov_b32 s4, 0
	s_andn2_b64 vcc, exec, s[30:31]
	v_mov_b32_e32 v8, 0
	s_cbranch_vccnz .LBB1_28
; %bb.23:                               ;   in Loop: Header=BB1_9 Depth=1
	s_mov_b32 s69, 0
	v_mov_b32_e32 v8, 0
	s_mov_b64 s[2:3], s[34:35]
	s_mov_b64 s[56:57], s[44:45]
	v_mov_b32_e32 v3, v12
.LBB1_24:                               ;   Parent Loop BB1_9 Depth=1
                                        ; =>  This Inner Loop Header: Depth=2
	s_load_dwordx8 s[16:23], s[2:3], 0x4
	s_load_dwordx4 s[4:7], s[2:3], 0x24
	s_load_dwordx4 s[36:39], s[56:57], 0x0
	s_add_u32 s2, s2, 48
	s_addc_u32 s3, s3, 0
	s_waitcnt lgkmcnt(0)
	v_mul_hi_u32 v9, s17, v3
	v_add_u32_e32 v9, v3, v9
	v_lshrrev_b32_e32 v9, s18, v9
	v_mul_lo_u32 v15, v9, s16
	v_mul_hi_u32 v43, s20, v9
	v_sub_u32_e32 v3, v3, v15
	v_add_u32_e32 v15, v9, v43
	v_lshrrev_b32_e32 v15, s21, v15
	v_mul_lo_u32 v43, v15, s19
	v_mul_hi_u32 v44, s23, v15
	v_sub_u32_e32 v9, v9, v43
	v_add_u32_e32 v43, v15, v44
	v_mul_lo_u32 v3, v3, s36
	v_mul_lo_u32 v9, v9, s37
	v_lshrrev_b32_e32 v43, s4, v43
	v_add3_u32 v8, v3, v8, v9
	v_mul_lo_u32 v3, v43, s22
	v_mul_hi_u32 v9, s6, v43
	v_sub_u32_e32 v3, v15, v3
	v_add_u32_e32 v9, v43, v9
	v_mul_lo_u32 v15, v3, s38
	v_lshrrev_b32_e32 v3, s7, v9
	s_add_i32 s69, s69, 4
	v_mul_lo_u32 v9, v3, s5
	s_add_u32 s56, s56, 16
	v_sub_u32_e32 v9, v43, v9
	s_addc_u32 s57, s57, 0
	v_mul_lo_u32 v9, v9, s39
	s_cmp_lg_u32 s67, s69
	v_add3_u32 v8, v15, v8, v9
	s_cbranch_scc1 .LBB1_24
; %bb.25:                               ;   in Loop: Header=BB1_9 Depth=1
	s_mov_b32 s4, s67
	s_andn2_b64 vcc, exec, s[52:53]
	s_cbranch_vccz .LBB1_29
	s_branch .LBB1_31
.LBB1_26:                               ;   in Loop: Header=BB1_9 Depth=1
                                        ; implicit-def: $vgpr8
	s_branch .LBB1_32
.LBB1_27:                               ;   in Loop: Header=BB1_9 Depth=1
	v_mov_b32_e32 v8, 0
	s_branch .LBB1_31
.LBB1_28:                               ;   in Loop: Header=BB1_9 Depth=1
	v_mov_b32_e32 v3, v12
	s_andn2_b64 vcc, exec, s[52:53]
	s_cbranch_vccnz .LBB1_31
.LBB1_29:                               ;   in Loop: Header=BB1_9 Depth=1
	s_lshl_b32 s2, s4, 2
	s_add_u32 s2, s44, s2
	s_addc_u32 s3, s45, 0
	s_mul_i32 s4, s4, 12
	s_add_u32 s4, s34, s4
	s_addc_u32 s5, s35, 0
	s_mov_b32 s6, s66
.LBB1_30:                               ;   Parent Loop BB1_9 Depth=1
                                        ; =>  This Inner Loop Header: Depth=2
	s_load_dwordx2 s[16:17], s[4:5], 0x4
	s_load_dword s7, s[4:5], 0xc
	s_load_dword s18, s[2:3], 0x0
	s_add_u32 s4, s4, 12
	s_addc_u32 s5, s5, 0
	s_waitcnt lgkmcnt(0)
	v_mul_hi_u32 v9, s17, v3
	v_add_u32_e32 v9, v3, v9
	v_lshrrev_b32_e32 v9, s7, v9
	s_add_u32 s2, s2, 4
	v_mul_lo_u32 v15, v9, s16
	s_addc_u32 s3, s3, 0
	s_add_i32 s6, s6, -1
	v_sub_u32_e32 v15, v3, v15
	s_cmp_lg_u32 s6, 0
	v_mov_b32_e32 v3, v9
	v_mad_u64_u32 v[8:9], s[16:17], v15, s18, v[8:9]
	s_cbranch_scc1 .LBB1_30
.LBB1_31:                               ;   in Loop: Header=BB1_9 Depth=1
	s_cbranch_execnz .LBB1_34
.LBB1_32:                               ;   in Loop: Header=BB1_9 Depth=1
	v_mul_hi_u32 v3, v12, s10
	v_add_u32_e32 v3, v3, v12
	v_lshrrev_b32_e32 v3, s11, v3
	v_mul_lo_u32 v8, v3, s9
	v_sub_u32_e32 v8, v12, v8
	s_andn2_b64 vcc, exec, s[48:49]
	v_mul_lo_u32 v8, v8, s46
	s_cbranch_vccnz .LBB1_34
; %bb.33:                               ;   in Loop: Header=BB1_9 Depth=1
	v_mul_hi_u32 v9, s13, v3
	v_add_u32_e32 v9, v3, v9
	v_lshrrev_b32_e32 v9, s14, v9
	v_mul_lo_u32 v9, v9, s12
	v_sub_u32_e32 v3, v3, v9
	v_mad_u64_u32 v[8:9], s[2:3], v3, s47, v[8:9]
.LBB1_34:                               ;   in Loop: Header=BB1_9 Depth=1
	v_lshrrev_b32_e32 v3, 11, v5
	v_cvt_f64_u32_e32 v[44:45], v3
	v_ldexp_f64 v[44:45], v[44:45], 32
	v_cvt_f64_u32_e32 v[4:5], v4
	v_add_f64 v[4:5], v[44:45], v[4:5]
	v_mov_b32_e32 v44, 0
	v_mov_b32_e32 v45, 0x3ca00000
	v_fmac_f64_e32 v[44:45], 0x3ca00000, v[4:5]
	v_cvt_f32_f64_e32 v3, v[44:45]
	v_cmp_gt_f32_e32 vcc, s68, v3
	v_cndmask_b32_e32 v4, 1.0, v39, vcc
	v_mul_f32_e32 v3, v3, v4
	v_log_f32_e32 v3, v3
	v_mul_f32_e32 v4, 0x3f317217, v3
	v_fma_f32 v5, v3, s8, -v4
	v_fmac_f32_e32 v5, 0x3377d1cf, v3
	v_add_f32_e32 v4, v4, v5
	v_cmp_lt_f32_e64 s[2:3], |v3|, s15
	v_cndmask_b32_e64 v3, v3, v4, s[2:3]
	v_cndmask_b32_e32 v4, 0, v40, vcc
	v_sub_f32_e32 v3, v3, v4
	v_div_scale_f32 v4, s[2:3], v37, v37, v3
	v_rcp_f32_e32 v5, v4
	v_fma_f32 v9, -v4, v5, 1.0
	v_fmac_f32_e32 v5, v9, v5
	v_div_scale_f32 v9, vcc, v3, v37, v3
	v_mul_f32_e32 v15, v9, v5
	v_fma_f32 v43, -v4, v15, v9
	v_fmac_f32_e32 v15, v43, v5
	v_fma_f32 v4, -v4, v15, v9
	v_div_fmas_f32 v4, v4, v5, v15
	v_div_fixup_f32 v3, v4, v37, v3
	v_ceil_f32_e32 v3, v3
	v_cvt_i32_f32_e32 v3, v3
	global_store_byte v8, v3, s[28:29]
.LBB1_35:                               ;   in Loop: Header=BB1_9 Depth=1
	s_or_b64 exec, exec, s[54:55]
	v_mov_b32_e32 v3, s59
	v_add_co_u32_e32 v8, vcc, s33, v12
	v_addc_co_u32_e32 v9, vcc, v13, v3, vcc
	v_cmp_gt_i64_e32 vcc, s[24:25], v[8:9]
	s_and_saveexec_b64 s[54:55], vcc
	s_cbranch_execz .LBB1_51
; %bb.36:                               ;   in Loop: Header=BB1_9 Depth=1
	s_and_b64 vcc, exec, s[0:1]
	s_cbranch_vccnz .LBB1_42
; %bb.37:                               ;   in Loop: Header=BB1_9 Depth=1
	s_andn2_b64 vcc, exec, s[42:43]
	s_cbranch_vccnz .LBB1_43
; %bb.38:                               ;   in Loop: Header=BB1_9 Depth=1
	s_mov_b32 s4, 0
	s_andn2_b64 vcc, exec, s[30:31]
	v_mov_b32_e32 v4, 0
	s_cbranch_vccnz .LBB1_44
; %bb.39:                               ;   in Loop: Header=BB1_9 Depth=1
	s_mov_b32 s69, 0
	v_mov_b32_e32 v4, 0
	s_mov_b64 s[2:3], s[34:35]
	s_mov_b64 s[56:57], s[44:45]
	v_mov_b32_e32 v3, v8
.LBB1_40:                               ;   Parent Loop BB1_9 Depth=1
                                        ; =>  This Inner Loop Header: Depth=2
	s_load_dwordx8 s[16:23], s[2:3], 0x4
	s_load_dwordx4 s[4:7], s[2:3], 0x24
	s_load_dwordx4 s[36:39], s[56:57], 0x0
	s_add_u32 s2, s2, 48
	s_addc_u32 s3, s3, 0
	s_waitcnt lgkmcnt(0)
	v_mul_hi_u32 v5, s17, v3
	v_add_u32_e32 v5, v3, v5
	v_lshrrev_b32_e32 v5, s18, v5
	v_mul_lo_u32 v9, v5, s16
	v_mul_hi_u32 v15, s20, v5
	v_sub_u32_e32 v3, v3, v9
	v_add_u32_e32 v9, v5, v15
	v_lshrrev_b32_e32 v9, s21, v9
	v_mul_lo_u32 v15, v9, s19
	v_mul_hi_u32 v43, s23, v9
	v_sub_u32_e32 v5, v5, v15
	v_add_u32_e32 v15, v9, v43
	v_mul_lo_u32 v3, v3, s36
	v_mul_lo_u32 v5, v5, s37
	v_lshrrev_b32_e32 v15, s4, v15
	v_add3_u32 v4, v3, v4, v5
	v_mul_lo_u32 v3, v15, s22
	v_mul_hi_u32 v5, s6, v15
	v_sub_u32_e32 v3, v9, v3
	v_add_u32_e32 v5, v15, v5
	v_mul_lo_u32 v9, v3, s38
	v_lshrrev_b32_e32 v3, s7, v5
	s_add_i32 s69, s69, 4
	v_mul_lo_u32 v5, v3, s5
	s_add_u32 s56, s56, 16
	v_sub_u32_e32 v5, v15, v5
	s_addc_u32 s57, s57, 0
	v_mul_lo_u32 v5, v5, s39
	s_cmp_eq_u32 s67, s69
	v_add3_u32 v4, v9, v4, v5
	s_cbranch_scc0 .LBB1_40
; %bb.41:                               ;   in Loop: Header=BB1_9 Depth=1
	s_mov_b32 s4, s67
	s_andn2_b64 vcc, exec, s[52:53]
	s_cbranch_vccz .LBB1_45
	s_branch .LBB1_47
.LBB1_42:                               ;   in Loop: Header=BB1_9 Depth=1
                                        ; implicit-def: $vgpr4
	s_branch .LBB1_48
.LBB1_43:                               ;   in Loop: Header=BB1_9 Depth=1
	v_mov_b32_e32 v4, 0
	s_branch .LBB1_47
.LBB1_44:                               ;   in Loop: Header=BB1_9 Depth=1
	v_mov_b32_e32 v3, v8
	s_andn2_b64 vcc, exec, s[52:53]
	s_cbranch_vccnz .LBB1_47
.LBB1_45:                               ;   in Loop: Header=BB1_9 Depth=1
	s_lshl_b32 s2, s4, 2
	s_add_u32 s2, s44, s2
	s_addc_u32 s3, s45, 0
	s_mul_i32 s4, s4, 12
	s_add_u32 s4, s34, s4
	s_addc_u32 s5, s35, 0
	s_mov_b32 s6, s66
.LBB1_46:                               ;   Parent Loop BB1_9 Depth=1
                                        ; =>  This Inner Loop Header: Depth=2
	s_load_dwordx2 s[16:17], s[4:5], 0x4
	s_load_dword s7, s[4:5], 0xc
	s_load_dword s18, s[2:3], 0x0
	s_add_u32 s4, s4, 12
	s_addc_u32 s5, s5, 0
	s_waitcnt lgkmcnt(0)
	v_mul_hi_u32 v5, s17, v3
	v_add_u32_e32 v5, v3, v5
	v_lshrrev_b32_e32 v5, s7, v5
	s_add_u32 s2, s2, 4
	v_mul_lo_u32 v9, v5, s16
	s_addc_u32 s3, s3, 0
	s_add_i32 s6, s6, -1
	v_sub_u32_e32 v9, v3, v9
	s_cmp_lg_u32 s6, 0
	v_mov_b32_e32 v3, v5
	v_mad_u64_u32 v[4:5], s[16:17], v9, s18, v[4:5]
	s_cbranch_scc1 .LBB1_46
.LBB1_47:                               ;   in Loop: Header=BB1_9 Depth=1
	s_cbranch_execnz .LBB1_50
.LBB1_48:                               ;   in Loop: Header=BB1_9 Depth=1
	v_mul_hi_u32 v3, v8, s10
	v_add_u32_e32 v3, v3, v8
	v_lshrrev_b32_e32 v3, s11, v3
	v_mul_lo_u32 v4, v3, s9
	v_sub_u32_e32 v4, v8, v4
	s_andn2_b64 vcc, exec, s[48:49]
	v_mul_lo_u32 v4, v4, s46
	s_cbranch_vccnz .LBB1_50
; %bb.49:                               ;   in Loop: Header=BB1_9 Depth=1
	v_mul_hi_u32 v5, s13, v3
	v_add_u32_e32 v5, v3, v5
	v_lshrrev_b32_e32 v5, s14, v5
	v_mul_lo_u32 v5, v5, s12
	v_sub_u32_e32 v3, v3, v5
	v_mad_u64_u32 v[4:5], s[2:3], v3, s47, v[4:5]
.LBB1_50:                               ;   in Loop: Header=BB1_9 Depth=1
	v_lshrrev_b32_e32 v3, 11, v7
	v_cvt_f64_u32_e32 v[8:9], v3
	v_ldexp_f64 v[8:9], v[8:9], 32
	v_cvt_f64_u32_e32 v[6:7], v6
	v_add_f64 v[6:7], v[8:9], v[6:7]
	v_mov_b32_e32 v8, 0
	v_mov_b32_e32 v9, 0x3ca00000
	v_fmac_f64_e32 v[8:9], 0x3ca00000, v[6:7]
	v_cvt_f32_f64_e32 v3, v[8:9]
	v_cmp_gt_f32_e32 vcc, s68, v3
	v_cndmask_b32_e32 v5, 1.0, v39, vcc
	v_mul_f32_e32 v3, v3, v5
	v_log_f32_e32 v3, v3
	v_mul_f32_e32 v5, 0x3f317217, v3
	v_fma_f32 v6, v3, s8, -v5
	v_fmac_f32_e32 v6, 0x3377d1cf, v3
	v_add_f32_e32 v5, v5, v6
	v_cmp_lt_f32_e64 s[2:3], |v3|, s15
	v_cndmask_b32_e64 v3, v3, v5, s[2:3]
	v_cndmask_b32_e32 v5, 0, v40, vcc
	v_sub_f32_e32 v3, v3, v5
	v_div_scale_f32 v5, s[2:3], v37, v37, v3
	v_rcp_f32_e32 v6, v5
	v_fma_f32 v7, -v5, v6, 1.0
	v_fmac_f32_e32 v6, v7, v6
	v_div_scale_f32 v7, vcc, v3, v37, v3
	v_mul_f32_e32 v8, v7, v6
	v_fma_f32 v9, -v5, v8, v7
	v_fmac_f32_e32 v8, v9, v6
	v_fma_f32 v5, -v5, v8, v7
	v_div_fmas_f32 v5, v5, v6, v8
	v_div_fixup_f32 v3, v5, v37, v3
	v_ceil_f32_e32 v3, v3
	v_cvt_i32_f32_e32 v3, v3
	global_store_byte v4, v3, s[28:29]
.LBB1_51:                               ;   in Loop: Header=BB1_9 Depth=1
	s_or_b64 exec, exec, s[54:55]
	v_mov_b32_e32 v3, s63
	v_add_co_u32_e32 v4, vcc, s62, v12
	v_addc_co_u32_e32 v5, vcc, v13, v3, vcc
	v_cmp_gt_i64_e32 vcc, s[24:25], v[4:5]
	s_and_saveexec_b64 s[2:3], vcc
	s_cbranch_execz .LBB1_67
; %bb.52:                               ;   in Loop: Header=BB1_9 Depth=1
	s_and_b64 vcc, exec, s[0:1]
	s_cbranch_vccnz .LBB1_58
; %bb.53:                               ;   in Loop: Header=BB1_9 Depth=1
	s_andn2_b64 vcc, exec, s[42:43]
	s_cbranch_vccnz .LBB1_59
; %bb.54:                               ;   in Loop: Header=BB1_9 Depth=1
	s_mov_b32 s6, 0
	s_andn2_b64 vcc, exec, s[30:31]
	v_mov_b32_e32 v6, 0
	s_cbranch_vccnz .LBB1_60
; %bb.55:                               ;   in Loop: Header=BB1_9 Depth=1
	s_mov_b32 s69, 0
	v_mov_b32_e32 v6, 0
	s_mov_b64 s[54:55], s[34:35]
	s_mov_b64 s[56:57], s[44:45]
	v_mov_b32_e32 v3, v4
.LBB1_56:                               ;   Parent Loop BB1_9 Depth=1
                                        ; =>  This Inner Loop Header: Depth=2
	s_load_dwordx8 s[16:23], s[54:55], 0x4
	s_load_dwordx4 s[4:7], s[54:55], 0x24
	s_load_dwordx4 s[36:39], s[56:57], 0x0
	s_add_u32 s54, s54, 48
	s_addc_u32 s55, s55, 0
	s_waitcnt lgkmcnt(0)
	v_mul_hi_u32 v5, s17, v3
	v_add_u32_e32 v5, v3, v5
	v_lshrrev_b32_e32 v5, s18, v5
	v_mul_lo_u32 v7, v5, s16
	v_mul_hi_u32 v8, s20, v5
	v_sub_u32_e32 v3, v3, v7
	v_add_u32_e32 v7, v5, v8
	v_lshrrev_b32_e32 v7, s21, v7
	v_mul_lo_u32 v8, v7, s19
	v_mul_hi_u32 v9, s23, v7
	v_sub_u32_e32 v5, v5, v8
	v_add_u32_e32 v8, v7, v9
	v_mul_lo_u32 v3, v3, s36
	v_mul_lo_u32 v5, v5, s37
	v_lshrrev_b32_e32 v8, s4, v8
	v_add3_u32 v5, v3, v6, v5
	v_mul_lo_u32 v3, v8, s22
	v_mul_hi_u32 v6, s6, v8
	v_sub_u32_e32 v3, v7, v3
	v_add_u32_e32 v6, v8, v6
	v_mul_lo_u32 v7, v3, s38
	v_lshrrev_b32_e32 v3, s7, v6
	s_add_i32 s69, s69, 4
	v_mul_lo_u32 v6, v3, s5
	s_add_u32 s56, s56, 16
	v_sub_u32_e32 v6, v8, v6
	s_addc_u32 s57, s57, 0
	v_mul_lo_u32 v6, v6, s39
	s_cmp_eq_u32 s67, s69
	v_add3_u32 v6, v7, v5, v6
	s_cbranch_scc0 .LBB1_56
; %bb.57:                               ;   in Loop: Header=BB1_9 Depth=1
	s_mov_b32 s6, s67
	s_andn2_b64 vcc, exec, s[52:53]
	s_cbranch_vccz .LBB1_61
	s_branch .LBB1_63
.LBB1_58:                               ;   in Loop: Header=BB1_9 Depth=1
                                        ; implicit-def: $vgpr6
	s_branch .LBB1_64
.LBB1_59:                               ;   in Loop: Header=BB1_9 Depth=1
	v_mov_b32_e32 v6, 0
	s_branch .LBB1_63
.LBB1_60:                               ;   in Loop: Header=BB1_9 Depth=1
	v_mov_b32_e32 v3, v4
	s_andn2_b64 vcc, exec, s[52:53]
	s_cbranch_vccnz .LBB1_63
.LBB1_61:                               ;   in Loop: Header=BB1_9 Depth=1
	s_lshl_b32 s4, s6, 2
	s_add_u32 s4, s44, s4
	s_addc_u32 s5, s45, 0
	s_mul_i32 s6, s6, 12
	s_add_u32 s6, s34, s6
	s_addc_u32 s7, s35, 0
	s_mov_b32 s16, s66
.LBB1_62:                               ;   Parent Loop BB1_9 Depth=1
                                        ; =>  This Inner Loop Header: Depth=2
	s_load_dwordx2 s[18:19], s[6:7], 0x4
	s_load_dword s17, s[6:7], 0xc
	s_load_dword s20, s[4:5], 0x0
	s_add_u32 s6, s6, 12
	s_addc_u32 s7, s7, 0
	s_waitcnt lgkmcnt(0)
	v_mul_hi_u32 v5, s19, v3
	v_add_u32_e32 v5, v3, v5
	v_lshrrev_b32_e32 v5, s17, v5
	s_add_u32 s4, s4, 4
	v_mul_lo_u32 v7, v5, s18
	s_addc_u32 s5, s5, 0
	s_add_i32 s16, s16, -1
	v_sub_u32_e32 v7, v3, v7
	s_cmp_lg_u32 s16, 0
	v_mov_b32_e32 v3, v5
	v_mad_u64_u32 v[6:7], s[18:19], v7, s20, v[6:7]
	s_cbranch_scc1 .LBB1_62
.LBB1_63:                               ;   in Loop: Header=BB1_9 Depth=1
	s_cbranch_execnz .LBB1_66
.LBB1_64:                               ;   in Loop: Header=BB1_9 Depth=1
	v_mul_hi_u32 v3, v4, s10
	v_add_u32_e32 v3, v3, v4
	v_lshrrev_b32_e32 v3, s11, v3
	v_mul_lo_u32 v5, v3, s9
	v_sub_u32_e32 v4, v4, v5
	s_andn2_b64 vcc, exec, s[48:49]
	v_mul_lo_u32 v6, v4, s46
	s_cbranch_vccnz .LBB1_66
; %bb.65:                               ;   in Loop: Header=BB1_9 Depth=1
	v_mul_hi_u32 v4, s13, v3
	v_add_u32_e32 v4, v3, v4
	v_lshrrev_b32_e32 v4, s14, v4
	v_mul_lo_u32 v4, v4, s12
	v_sub_u32_e32 v3, v3, v4
	v_mad_u64_u32 v[6:7], s[4:5], v3, s47, v[6:7]
.LBB1_66:                               ;   in Loop: Header=BB1_9 Depth=1
	global_store_byte v6, v38, s[28:29]
.LBB1_67:                               ;   in Loop: Header=BB1_9 Depth=1
	s_or_b64 exec, exec, s[2:3]
	v_mov_b32_e32 v3, s65
	v_add_co_u32_e32 v4, vcc, s64, v12
	v_addc_co_u32_e32 v5, vcc, v13, v3, vcc
	v_cmp_gt_i64_e32 vcc, s[24:25], v[4:5]
	s_and_saveexec_b64 s[36:37], vcc
	s_cbranch_execz .LBB1_8
; %bb.68:                               ;   in Loop: Header=BB1_9 Depth=1
	s_and_b64 vcc, exec, s[0:1]
	s_cbranch_vccnz .LBB1_74
; %bb.69:                               ;   in Loop: Header=BB1_9 Depth=1
	s_andn2_b64 vcc, exec, s[42:43]
	s_cbranch_vccnz .LBB1_75
; %bb.70:                               ;   in Loop: Header=BB1_9 Depth=1
	s_mov_b32 s2, 0
	s_andn2_b64 vcc, exec, s[30:31]
	v_mov_b32_e32 v6, 0
	s_cbranch_vccnz .LBB1_76
; %bb.71:                               ;   in Loop: Header=BB1_9 Depth=1
	s_mov_b32 s56, 0
	v_mov_b32_e32 v6, 0
	s_mov_b64 s[38:39], s[34:35]
	s_mov_b64 s[54:55], s[44:45]
	v_mov_b32_e32 v3, v4
.LBB1_72:                               ;   Parent Loop BB1_9 Depth=1
                                        ; =>  This Inner Loop Header: Depth=2
	s_load_dwordx8 s[0:7], s[38:39], 0x4
	s_load_dwordx4 s[16:19], s[38:39], 0x24
	s_load_dwordx4 s[20:23], s[54:55], 0x0
	s_add_u32 s38, s38, 48
	s_addc_u32 s39, s39, 0
	s_waitcnt lgkmcnt(0)
	v_mul_hi_u32 v5, s1, v3
	v_add_u32_e32 v5, v3, v5
	v_lshrrev_b32_e32 v5, s2, v5
	v_mul_lo_u32 v7, v5, s0
	v_mul_hi_u32 v8, s4, v5
	v_sub_u32_e32 v3, v3, v7
	v_add_u32_e32 v7, v5, v8
	v_lshrrev_b32_e32 v7, s5, v7
	v_mul_lo_u32 v8, v7, s3
	v_mul_hi_u32 v9, s7, v7
	v_sub_u32_e32 v5, v5, v8
	v_add_u32_e32 v8, v7, v9
	v_mul_lo_u32 v3, v3, s20
	v_mul_lo_u32 v5, v5, s21
	v_lshrrev_b32_e32 v8, s16, v8
	v_add3_u32 v5, v3, v6, v5
	v_mul_lo_u32 v3, v8, s6
	v_mul_hi_u32 v6, s18, v8
	v_sub_u32_e32 v3, v7, v3
	v_add_u32_e32 v6, v8, v6
	v_mul_lo_u32 v7, v3, s22
	v_lshrrev_b32_e32 v3, s19, v6
	s_add_i32 s56, s56, 4
	v_mul_lo_u32 v6, v3, s17
	s_add_u32 s54, s54, 16
	v_sub_u32_e32 v6, v8, v6
	s_addc_u32 s55, s55, 0
	v_mul_lo_u32 v6, v6, s23
	s_cmp_eq_u32 s67, s56
	v_add3_u32 v6, v7, v5, v6
	s_cbranch_scc0 .LBB1_72
; %bb.73:                               ;   in Loop: Header=BB1_9 Depth=1
	s_mov_b32 s2, s67
	s_andn2_b64 vcc, exec, s[52:53]
	s_cbranch_vccz .LBB1_77
	s_branch .LBB1_79
.LBB1_74:                               ;   in Loop: Header=BB1_9 Depth=1
                                        ; implicit-def: $vgpr6
	s_branch .LBB1_80
.LBB1_75:                               ;   in Loop: Header=BB1_9 Depth=1
	v_mov_b32_e32 v6, 0
	s_branch .LBB1_79
.LBB1_76:                               ;   in Loop: Header=BB1_9 Depth=1
	v_mov_b32_e32 v3, v4
	s_andn2_b64 vcc, exec, s[52:53]
	s_cbranch_vccnz .LBB1_79
.LBB1_77:                               ;   in Loop: Header=BB1_9 Depth=1
	s_lshl_b32 s0, s2, 2
	s_add_u32 s0, s44, s0
	s_addc_u32 s1, s45, 0
	s_mul_i32 s2, s2, 12
	s_add_u32 s2, s34, s2
	s_addc_u32 s3, s35, 0
	s_mov_b32 s4, s66
.LBB1_78:                               ;   Parent Loop BB1_9 Depth=1
                                        ; =>  This Inner Loop Header: Depth=2
	s_load_dwordx2 s[6:7], s[2:3], 0x4
	s_load_dword s5, s[2:3], 0xc
	s_load_dword s16, s[0:1], 0x0
	s_add_u32 s2, s2, 12
	s_addc_u32 s3, s3, 0
	s_waitcnt lgkmcnt(0)
	v_mul_hi_u32 v5, s7, v3
	v_add_u32_e32 v5, v3, v5
	v_lshrrev_b32_e32 v5, s5, v5
	s_add_u32 s0, s0, 4
	v_mul_lo_u32 v7, v5, s6
	s_addc_u32 s1, s1, 0
	s_add_i32 s4, s4, -1
	v_sub_u32_e32 v7, v3, v7
	s_cmp_lg_u32 s4, 0
	v_mov_b32_e32 v3, v5
	v_mad_u64_u32 v[6:7], s[6:7], v7, s16, v[6:7]
	s_cbranch_scc1 .LBB1_78
.LBB1_79:                               ;   in Loop: Header=BB1_9 Depth=1
	s_cbranch_execnz .LBB1_7
.LBB1_80:                               ;   in Loop: Header=BB1_9 Depth=1
	v_mul_hi_u32 v3, v4, s10
	v_add_u32_e32 v3, v3, v4
	v_lshrrev_b32_e32 v3, s11, v3
	v_mul_lo_u32 v5, v3, s9
	v_sub_u32_e32 v4, v4, v5
	s_andn2_b64 vcc, exec, s[48:49]
	v_mul_lo_u32 v6, v4, s46
	s_cbranch_vccnz .LBB1_7
; %bb.81:                               ;   in Loop: Header=BB1_9 Depth=1
	v_mul_hi_u32 v4, s13, v3
	v_add_u32_e32 v4, v3, v4
	v_lshrrev_b32_e32 v4, s14, v4
	v_mul_lo_u32 v4, v4, s12
	v_sub_u32_e32 v3, v3, v4
	v_mad_u64_u32 v[6:7], s[0:1], v3, s47, v[6:7]
	s_branch .LBB1_7
.LBB1_82:
	s_endpgm
.LBB1_83:
                                        ; implicit-def: $sgpr2_sgpr3
	s_andn2_b64 vcc, exec, s[0:1]
	s_cbranch_vccz .LBB1_4
	s_branch .LBB1_5
	.section	.rodata,"a",@progbits
	.p2align	6, 0x0
	.amdhsa_kernel _ZN2at6native12_GLOBAL__N_143distribution_elementwise_grid_stride_kernelIfLi4EZNS0_9templates4cuda21uniform_and_transformIhfPNS_17CUDAGeneratorImplEZZZNS4_16geometric_kernelIS7_EEvRNS_18TensorIteratorBaseEdT_ENKUlvE_clEvENKUlvE_clEvEUlfE_EEvSA_T1_T2_EUlP25hiprandStatePhilox4_32_10E_ZNS1_27distribution_nullary_kernelIhf15HIP_vector_typeIdLj2EES7_SJ_SE_EEvSA_SG_RKT3_T4_EUlifE0_EEvlNS_15PhiloxCudaStateESF_SG_
		.amdhsa_group_segment_fixed_size 0
		.amdhsa_private_segment_fixed_size 0
		.amdhsa_kernarg_size 584
		.amdhsa_user_sgpr_count 6
		.amdhsa_user_sgpr_private_segment_buffer 1
		.amdhsa_user_sgpr_dispatch_ptr 0
		.amdhsa_user_sgpr_queue_ptr 0
		.amdhsa_user_sgpr_kernarg_segment_ptr 1
		.amdhsa_user_sgpr_dispatch_id 0
		.amdhsa_user_sgpr_flat_scratch_init 0
		.amdhsa_user_sgpr_kernarg_preload_length 0
		.amdhsa_user_sgpr_kernarg_preload_offset 0
		.amdhsa_user_sgpr_private_segment_size 0
		.amdhsa_uses_dynamic_stack 0
		.amdhsa_system_sgpr_private_segment_wavefront_offset 0
		.amdhsa_system_sgpr_workgroup_id_x 1
		.amdhsa_system_sgpr_workgroup_id_y 0
		.amdhsa_system_sgpr_workgroup_id_z 0
		.amdhsa_system_sgpr_workgroup_info 0
		.amdhsa_system_vgpr_workitem_id 0
		.amdhsa_next_free_vgpr 46
		.amdhsa_next_free_sgpr 70
		.amdhsa_accum_offset 48
		.amdhsa_reserve_vcc 1
		.amdhsa_reserve_flat_scratch 0
		.amdhsa_float_round_mode_32 0
		.amdhsa_float_round_mode_16_64 0
		.amdhsa_float_denorm_mode_32 3
		.amdhsa_float_denorm_mode_16_64 3
		.amdhsa_dx10_clamp 1
		.amdhsa_ieee_mode 1
		.amdhsa_fp16_overflow 0
		.amdhsa_tg_split 0
		.amdhsa_exception_fp_ieee_invalid_op 0
		.amdhsa_exception_fp_denorm_src 0
		.amdhsa_exception_fp_ieee_div_zero 0
		.amdhsa_exception_fp_ieee_overflow 0
		.amdhsa_exception_fp_ieee_underflow 0
		.amdhsa_exception_fp_ieee_inexact 0
		.amdhsa_exception_int_div_zero 0
	.end_amdhsa_kernel
	.section	.text._ZN2at6native12_GLOBAL__N_143distribution_elementwise_grid_stride_kernelIfLi4EZNS0_9templates4cuda21uniform_and_transformIhfPNS_17CUDAGeneratorImplEZZZNS4_16geometric_kernelIS7_EEvRNS_18TensorIteratorBaseEdT_ENKUlvE_clEvENKUlvE_clEvEUlfE_EEvSA_T1_T2_EUlP25hiprandStatePhilox4_32_10E_ZNS1_27distribution_nullary_kernelIhf15HIP_vector_typeIdLj2EES7_SJ_SE_EEvSA_SG_RKT3_T4_EUlifE0_EEvlNS_15PhiloxCudaStateESF_SG_,"axG",@progbits,_ZN2at6native12_GLOBAL__N_143distribution_elementwise_grid_stride_kernelIfLi4EZNS0_9templates4cuda21uniform_and_transformIhfPNS_17CUDAGeneratorImplEZZZNS4_16geometric_kernelIS7_EEvRNS_18TensorIteratorBaseEdT_ENKUlvE_clEvENKUlvE_clEvEUlfE_EEvSA_T1_T2_EUlP25hiprandStatePhilox4_32_10E_ZNS1_27distribution_nullary_kernelIhf15HIP_vector_typeIdLj2EES7_SJ_SE_EEvSA_SG_RKT3_T4_EUlifE0_EEvlNS_15PhiloxCudaStateESF_SG_,comdat
.Lfunc_end1:
	.size	_ZN2at6native12_GLOBAL__N_143distribution_elementwise_grid_stride_kernelIfLi4EZNS0_9templates4cuda21uniform_and_transformIhfPNS_17CUDAGeneratorImplEZZZNS4_16geometric_kernelIS7_EEvRNS_18TensorIteratorBaseEdT_ENKUlvE_clEvENKUlvE_clEvEUlfE_EEvSA_T1_T2_EUlP25hiprandStatePhilox4_32_10E_ZNS1_27distribution_nullary_kernelIhf15HIP_vector_typeIdLj2EES7_SJ_SE_EEvSA_SG_RKT3_T4_EUlifE0_EEvlNS_15PhiloxCudaStateESF_SG_, .Lfunc_end1-_ZN2at6native12_GLOBAL__N_143distribution_elementwise_grid_stride_kernelIfLi4EZNS0_9templates4cuda21uniform_and_transformIhfPNS_17CUDAGeneratorImplEZZZNS4_16geometric_kernelIS7_EEvRNS_18TensorIteratorBaseEdT_ENKUlvE_clEvENKUlvE_clEvEUlfE_EEvSA_T1_T2_EUlP25hiprandStatePhilox4_32_10E_ZNS1_27distribution_nullary_kernelIhf15HIP_vector_typeIdLj2EES7_SJ_SE_EEvSA_SG_RKT3_T4_EUlifE0_EEvlNS_15PhiloxCudaStateESF_SG_
                                        ; -- End function
	.section	.AMDGPU.csdata,"",@progbits
; Kernel info:
; codeLenInByte = 5432
; NumSgprs: 74
; NumVgprs: 46
; NumAgprs: 0
; TotalNumVgprs: 46
; ScratchSize: 0
; MemoryBound: 0
; FloatMode: 240
; IeeeMode: 1
; LDSByteSize: 0 bytes/workgroup (compile time only)
; SGPRBlocks: 9
; VGPRBlocks: 5
; NumSGPRsForWavesPerEU: 74
; NumVGPRsForWavesPerEU: 46
; AccumOffset: 48
; Occupancy: 8
; WaveLimiterHint : 1
; COMPUTE_PGM_RSRC2:SCRATCH_EN: 0
; COMPUTE_PGM_RSRC2:USER_SGPR: 6
; COMPUTE_PGM_RSRC2:TRAP_HANDLER: 0
; COMPUTE_PGM_RSRC2:TGID_X_EN: 1
; COMPUTE_PGM_RSRC2:TGID_Y_EN: 0
; COMPUTE_PGM_RSRC2:TGID_Z_EN: 0
; COMPUTE_PGM_RSRC2:TIDIG_COMP_CNT: 0
; COMPUTE_PGM_RSRC3_GFX90A:ACCUM_OFFSET: 11
; COMPUTE_PGM_RSRC3_GFX90A:TG_SPLIT: 0
	.section	.text._ZN2at6native12_GLOBAL__N_143distribution_elementwise_grid_stride_kernelIfLi4EZNS0_9templates4cuda21uniform_and_transformIhfPNS_17CUDAGeneratorImplEZZZNS4_16geometric_kernelIS7_EEvRNS_18TensorIteratorBaseEdT_ENKUlvE_clEvENKUlvE_clEvEUlfE_EEvSA_T1_T2_EUlP25hiprandStatePhilox4_32_10E0_ZNS1_27distribution_nullary_kernelIhf15HIP_vector_typeIfLj4EES7_SJ_SE_EEvSA_SG_RKT3_T4_EUlifE_EEvlNS_15PhiloxCudaStateESF_SG_,"axG",@progbits,_ZN2at6native12_GLOBAL__N_143distribution_elementwise_grid_stride_kernelIfLi4EZNS0_9templates4cuda21uniform_and_transformIhfPNS_17CUDAGeneratorImplEZZZNS4_16geometric_kernelIS7_EEvRNS_18TensorIteratorBaseEdT_ENKUlvE_clEvENKUlvE_clEvEUlfE_EEvSA_T1_T2_EUlP25hiprandStatePhilox4_32_10E0_ZNS1_27distribution_nullary_kernelIhf15HIP_vector_typeIfLj4EES7_SJ_SE_EEvSA_SG_RKT3_T4_EUlifE_EEvlNS_15PhiloxCudaStateESF_SG_,comdat
	.globl	_ZN2at6native12_GLOBAL__N_143distribution_elementwise_grid_stride_kernelIfLi4EZNS0_9templates4cuda21uniform_and_transformIhfPNS_17CUDAGeneratorImplEZZZNS4_16geometric_kernelIS7_EEvRNS_18TensorIteratorBaseEdT_ENKUlvE_clEvENKUlvE_clEvEUlfE_EEvSA_T1_T2_EUlP25hiprandStatePhilox4_32_10E0_ZNS1_27distribution_nullary_kernelIhf15HIP_vector_typeIfLj4EES7_SJ_SE_EEvSA_SG_RKT3_T4_EUlifE_EEvlNS_15PhiloxCudaStateESF_SG_ ; -- Begin function _ZN2at6native12_GLOBAL__N_143distribution_elementwise_grid_stride_kernelIfLi4EZNS0_9templates4cuda21uniform_and_transformIhfPNS_17CUDAGeneratorImplEZZZNS4_16geometric_kernelIS7_EEvRNS_18TensorIteratorBaseEdT_ENKUlvE_clEvENKUlvE_clEvEUlfE_EEvSA_T1_T2_EUlP25hiprandStatePhilox4_32_10E0_ZNS1_27distribution_nullary_kernelIhf15HIP_vector_typeIfLj4EES7_SJ_SE_EEvSA_SG_RKT3_T4_EUlifE_EEvlNS_15PhiloxCudaStateESF_SG_
	.p2align	8
	.type	_ZN2at6native12_GLOBAL__N_143distribution_elementwise_grid_stride_kernelIfLi4EZNS0_9templates4cuda21uniform_and_transformIhfPNS_17CUDAGeneratorImplEZZZNS4_16geometric_kernelIS7_EEvRNS_18TensorIteratorBaseEdT_ENKUlvE_clEvENKUlvE_clEvEUlfE_EEvSA_T1_T2_EUlP25hiprandStatePhilox4_32_10E0_ZNS1_27distribution_nullary_kernelIhf15HIP_vector_typeIfLj4EES7_SJ_SE_EEvSA_SG_RKT3_T4_EUlifE_EEvlNS_15PhiloxCudaStateESF_SG_,@function
_ZN2at6native12_GLOBAL__N_143distribution_elementwise_grid_stride_kernelIfLi4EZNS0_9templates4cuda21uniform_and_transformIhfPNS_17CUDAGeneratorImplEZZZNS4_16geometric_kernelIS7_EEvRNS_18TensorIteratorBaseEdT_ENKUlvE_clEvENKUlvE_clEvEUlfE_EEvSA_T1_T2_EUlP25hiprandStatePhilox4_32_10E0_ZNS1_27distribution_nullary_kernelIhf15HIP_vector_typeIfLj4EES7_SJ_SE_EEvSA_SG_RKT3_T4_EUlifE_EEvlNS_15PhiloxCudaStateESF_SG_: ; @_ZN2at6native12_GLOBAL__N_143distribution_elementwise_grid_stride_kernelIfLi4EZNS0_9templates4cuda21uniform_and_transformIhfPNS_17CUDAGeneratorImplEZZZNS4_16geometric_kernelIS7_EEvRNS_18TensorIteratorBaseEdT_ENKUlvE_clEvENKUlvE_clEvEUlfE_EEvSA_T1_T2_EUlP25hiprandStatePhilox4_32_10E0_ZNS1_27distribution_nullary_kernelIhf15HIP_vector_typeIfLj4EES7_SJ_SE_EEvSA_SG_RKT3_T4_EUlifE_EEvlNS_15PhiloxCudaStateESF_SG_
; %bb.0:
	s_load_dword s7, s[4:5], 0x20
	s_load_dwordx2 s[10:11], s[4:5], 0x10
	s_load_dwordx4 s[0:3], s[4:5], 0x0
	s_mov_b32 s8, 0
	s_waitcnt lgkmcnt(0)
	s_bitcmp0_b32 s7, 0
	v_pk_mov_b32 v[2:3], s[10:11], s[10:11] op_sel:[0,1]
	v_pk_mov_b32 v[14:15], s[2:3], s[2:3] op_sel:[0,1]
	s_cbranch_scc1 .LBB2_2
; %bb.1:
	v_pk_mov_b32 v[2:3], s[10:11], s[10:11] op_sel:[0,1]
	flat_load_dwordx2 v[2:3], v[2:3]
	v_pk_mov_b32 v[4:5], s[2:3], s[2:3] op_sel:[0,1]
	flat_load_dwordx2 v[14:15], v[4:5]
	s_load_dwordx2 s[2:3], s[4:5], 0x18
	s_waitcnt lgkmcnt(0)
	v_mov_b32_e32 v1, s3
	s_waitcnt vmcnt(0)
	v_add_co_u32_e32 v2, vcc, s2, v2
	v_addc_co_u32_e32 v3, vcc, v3, v1, vcc
.LBB2_2:
	s_load_dword s2, s[4:5], 0x54
	s_load_dword s21, s[4:5], 0x48
	s_waitcnt lgkmcnt(0)
	s_and_b32 s7, s2, 0xffff
	s_add_u32 s10, s0, -1
	s_mul_i32 s12, s21, s7
	s_addc_u32 s9, s1, -1
	s_lshl_b32 s13, s12, 2
	s_cmp_lg_u64 s[8:9], 0
	s_mov_b64 s[2:3], -1
	s_cbranch_scc0 .LBB2_27
; %bb.3:
	v_cvt_f32_u32_e32 v1, s13
	v_cvt_f32_ubyte0_e32 v4, 0
	s_sub_u32 s8, 0, s13
	s_subb_u32 s11, 0, 0
	v_madmk_f32 v1, v4, 0x4f800000, v1
	v_rcp_f32_e32 v1, v1
	v_mul_f32_e32 v1, 0x5f7ffffc, v1
	v_mul_f32_e32 v4, 0x2f800000, v1
	v_trunc_f32_e32 v4, v4
	v_madmk_f32 v1, v4, 0xcf800000, v1
	v_cvt_u32_f32_e32 v4, v4
	v_cvt_u32_f32_e32 v1, v1
	v_readfirstlane_b32 s14, v4
	v_readfirstlane_b32 s15, v1
	s_mul_i32 s16, s8, s14
	s_mul_hi_u32 s18, s8, s15
	s_mul_i32 s17, s11, s15
	s_add_i32 s16, s18, s16
	s_add_i32 s16, s16, s17
	s_mul_i32 s19, s8, s15
	s_mul_hi_u32 s17, s15, s16
	s_mul_i32 s18, s15, s16
	s_mul_hi_u32 s15, s15, s19
	s_add_u32 s15, s15, s18
	s_addc_u32 s17, 0, s17
	s_mul_hi_u32 s20, s14, s19
	s_mul_i32 s19, s14, s19
	s_add_u32 s15, s15, s19
	s_mul_hi_u32 s18, s14, s16
	s_addc_u32 s15, s17, s20
	s_addc_u32 s17, s18, 0
	s_mul_i32 s16, s14, s16
	s_add_u32 s15, s15, s16
	s_addc_u32 s16, 0, s17
	v_add_co_u32_e32 v1, vcc, s15, v1
	s_cmp_lg_u64 vcc, 0
	s_addc_u32 s14, s14, s16
	v_readfirstlane_b32 s16, v1
	s_mul_i32 s15, s8, s14
	s_mul_hi_u32 s17, s8, s16
	s_add_i32 s15, s17, s15
	s_mul_i32 s11, s11, s16
	s_add_i32 s15, s15, s11
	s_mul_i32 s8, s8, s16
	s_mul_hi_u32 s17, s14, s8
	s_mul_i32 s18, s14, s8
	s_mul_i32 s20, s16, s15
	s_mul_hi_u32 s8, s16, s8
	s_mul_hi_u32 s19, s16, s15
	s_add_u32 s8, s8, s20
	s_addc_u32 s16, 0, s19
	s_add_u32 s8, s8, s18
	s_mul_hi_u32 s11, s14, s15
	s_addc_u32 s8, s16, s17
	s_addc_u32 s11, s11, 0
	s_mul_i32 s15, s14, s15
	s_add_u32 s8, s8, s15
	s_addc_u32 s11, 0, s11
	v_add_co_u32_e32 v1, vcc, s8, v1
	s_cmp_lg_u64 vcc, 0
	s_addc_u32 s11, s14, s11
	s_ashr_i32 s14, s9, 31
	s_add_u32 s8, s10, s14
	s_mov_b32 s15, s14
	s_addc_u32 s9, s9, s14
	s_xor_b64 s[8:9], s[8:9], s[14:15]
	v_readfirstlane_b32 s18, v1
	s_mul_i32 s17, s8, s11
	s_mul_hi_u32 s19, s8, s18
	s_mul_hi_u32 s16, s8, s11
	s_add_u32 s17, s19, s17
	s_addc_u32 s16, 0, s16
	s_mul_hi_u32 s20, s9, s18
	s_mul_i32 s18, s9, s18
	s_add_u32 s17, s17, s18
	s_mul_hi_u32 s19, s9, s11
	s_addc_u32 s16, s16, s20
	s_addc_u32 s17, s19, 0
	s_mul_i32 s11, s9, s11
	s_add_u32 s11, s16, s11
	s_addc_u32 s16, 0, s17
	s_add_u32 s17, s11, 1
	s_addc_u32 s18, s16, 0
	s_add_u32 s19, s11, 2
	s_mul_i32 s22, s13, s16
	s_mul_hi_u32 s23, s13, s11
	s_addc_u32 s20, s16, 0
	s_add_i32 s23, s23, s22
	s_mul_i32 s22, s13, s11
	v_mov_b32_e32 v1, s22
	v_sub_co_u32_e32 v1, vcc, s8, v1
	s_cmp_lg_u64 vcc, 0
	s_subb_u32 s8, s9, s23
	v_subrev_co_u32_e32 v4, vcc, s13, v1
	s_cmp_lg_u64 vcc, 0
	s_subb_u32 s9, s8, 0
	v_readfirstlane_b32 s22, v4
	s_cmp_ge_u32 s22, s13
	s_cselect_b32 s22, -1, 0
	s_cmp_eq_u32 s9, 0
	s_cselect_b32 s9, s22, -1
	s_cmp_lg_u32 s9, 0
	s_cselect_b32 s9, s20, s18
	v_readfirstlane_b32 s18, v1
	s_cselect_b32 s17, s19, s17
	s_cmp_ge_u32 s18, s13
	s_cselect_b32 s18, -1, 0
	s_cmp_eq_u32 s8, 0
	s_cselect_b32 s8, s18, -1
	s_cmp_lg_u32 s8, 0
	s_cselect_b32 s9, s9, s16
	s_cselect_b32 s8, s17, s11
	s_xor_b64 s[8:9], s[8:9], s[14:15]
	s_sub_u32 s8, s8, s14
	s_subb_u32 s9, s9, s14
	s_cbranch_execnz .LBB2_5
.LBB2_4:
	v_cvt_f32_u32_e32 v1, s13
	s_sub_i32 s2, 0, s13
	s_mov_b32 s9, 0
	v_rcp_iflag_f32_e32 v1, v1
	v_mul_f32_e32 v1, 0x4f7ffffe, v1
	v_cvt_u32_f32_e32 v1, v1
	v_readfirstlane_b32 s3, v1
	s_mul_i32 s2, s2, s3
	s_mul_hi_u32 s2, s3, s2
	s_add_i32 s3, s3, s2
	s_mul_hi_u32 s2, s10, s3
	s_mul_i32 s8, s2, s13
	s_sub_i32 s8, s10, s8
	s_add_i32 s3, s2, 1
	s_sub_i32 s10, s8, s13
	s_cmp_ge_u32 s8, s13
	s_cselect_b32 s2, s3, s2
	s_cselect_b32 s8, s10, s8
	s_add_i32 s3, s2, 1
	s_cmp_ge_u32 s8, s13
	s_cselect_b32 s8, s3, s2
.LBB2_5:
	v_mov_b32_e32 v1, 0
	v_mov_b32_e32 v4, s6
	v_mad_u64_u32 v[16:17], s[2:3], s7, v4, v[0:1]
	s_add_u32 s2, s8, 1
	s_addc_u32 s3, s9, 0
	s_mul_hi_u32 s8, s21, s7
	s_mul_i32 s3, s12, s3
	s_mul_hi_u32 s9, s12, s2
	s_add_i32 s3, s9, s3
	s_mul_i32 s8, s8, s2
	s_add_i32 s3, s3, s8
	s_mul_i32 s2, s12, s2
	s_lshl_b64 s[2:3], s[2:3], 2
	v_cmp_gt_i64_e32 vcc, s[2:3], v[16:17]
	s_and_saveexec_b64 s[8:9], vcc
	s_cbranch_execz .LBB2_26
; %bb.6:
	s_load_dwordx2 s[8:9], s[4:5], 0x30
	s_load_dword s23, s[4:5], 0x38
	s_load_dwordx2 s[10:11], s[4:5], 0x40
	s_mov_b32 s4, 0x5384540f
	v_mov_b32_e32 v4, v15
	v_add_co_u32_e32 v22, vcc, s4, v14
	s_mov_b32 s4, 0x646e171e
	v_add_co_u32_e32 v23, vcc, s4, v4
	s_mov_b32 s4, 0x1715609d
	;; [unrolled: 2-line block ×6, first 2 shown]
	v_alignbit_b32 v29, v3, v2, 2
	s_mov_b32 s15, 0xd2511f53
	v_add_co_u32_e32 v28, vcc, s4, v14
	v_mad_u64_u32 v[6:7], s[4:5], v29, s15, 0
	v_xor_b32_e32 v1, v7, v15
	v_xor_b32_e32 v1, v1, v17
	s_mov_b32 s16, 0xcd9e8d57
	v_mad_u64_u32 v[8:9], s[4:5], v1, s16, 0
	v_xor_b32_e32 v1, v28, v9
	v_mad_u64_u32 v[10:11], s[4:5], v16, s16, 0
	v_and_b32_e32 v18, 3, v2
	v_xor_b32_e32 v1, v1, v10
	v_xor_b32_e32 v2, v14, v11
	v_lshrrev_b32_e32 v30, 2, v3
	v_mad_u64_u32 v[12:13], s[4:5], v1, s15, 0
	v_xor_b32_e32 v2, v2, v30
	v_xor_b32_e32 v1, v27, v13
	v_mad_u64_u32 v[2:3], s[4:5], v2, s15, 0
	v_xor_b32_e32 v1, v1, v2
	v_mad_u64_u32 v[10:11], s[4:5], v1, s16, 0
	s_mov_b32 s4, 0xbb67ae85
	v_add_co_u32_e32 v31, vcc, s4, v4
	v_xor_b32_e32 v2, v31, v3
	v_xor_b32_e32 v2, v2, v6
	v_xor_b32_e32 v1, v26, v11
	v_mad_u64_u32 v[2:3], s[4:5], v2, s16, 0
	v_xor_b32_e32 v1, v1, v2
	v_mad_u64_u32 v[6:7], s[4:5], v1, s15, 0
	s_mov_b32 s4, 0x3c6ef372
	v_add_co_u32_e32 v32, vcc, s4, v14
	v_xor_b32_e32 v2, v32, v3
	;; [unrolled: 8-line block ×6, first 2 shown]
	v_add_co_u32_e32 v21, vcc, 0xdb3d7428, v4
	v_xor_b32_e32 v2, v2, v8
	v_xor_b32_e32 v1, v21, v7
	v_mad_u64_u32 v[2:3], s[4:5], v2, s15, 0
	v_xor_b32_e32 v1, v1, v2
	v_mad_u64_u32 v[8:9], s[4:5], v1, s16, 0
	s_mov_b32 s4, 0x1fd5c5a3
	v_add_co_u32_e32 v37, vcc, s4, v4
	v_xor_b32_e32 v1, v37, v3
	v_xor_b32_e32 v1, v1, v12
	v_mad_u64_u32 v[2:3], s[4:5], v1, s16, 0
	s_mov_b32 s4, 0xf1bbcdc8
	v_add_u32_e32 v19, 0x8ff34781, v14
	v_xor_b32_e32 v1, v9, v2
	v_add_co_u32_e32 v38, vcc, s4, v14
	v_xor_b32_e32 v2, v19, v1
	v_xor_b32_e32 v1, v38, v3
	;; [unrolled: 1-line block ×3, first 2 shown]
	v_mad_u64_u32 v[10:11], s[4:5], v1, s15, 0
	v_add_u32_e32 v20, 0x96a522ad, v15
	v_xor_b32_e32 v1, v11, v6
	v_xor_b32_e32 v4, v20, v1
	s_waitcnt lgkmcnt(0)
	v_cvt_f32_f64_e32 v1, s[10:11]
	v_mov_b32_e32 v3, v8
	v_sub_f32_e32 v8, 1.0, v1
	v_add_f32_e32 v6, -1.0, v8
	v_sub_f32_e32 v7, v6, v8
	v_add_f32_e32 v7, 1.0, v7
	v_sub_f32_e64 v6, -v1, v6
	v_mov_b32_e32 v5, v10
	v_add_f32_e32 v9, v6, v7
	v_frexp_mant_f32_e32 v10, v8
	s_mov_b32 s4, 0x3f2aaaab
	v_cvt_f64_f32_e32 v[6:7], v8
	v_frexp_exp_i32_f64_e32 v6, v[6:7]
	v_cmp_gt_f32_e32 vcc, s4, v10
	v_subbrev_co_u32_e32 v6, vcc, 0, v6, vcc
	v_sub_u32_e32 v7, 0, v6
	v_ldexp_f32 v8, v8, v7
	v_ldexp_f32 v7, v9, v7
	v_add_f32_e32 v9, -1.0, v8
	v_add_f32_e32 v12, 1.0, v8
	v_add_f32_e32 v10, 1.0, v9
	v_add_f32_e32 v13, -1.0, v12
	v_sub_f32_e32 v10, v8, v10
	v_sub_f32_e32 v8, v8, v13
	v_add_f32_e32 v10, v7, v10
	v_add_f32_e32 v7, v7, v8
	;; [unrolled: 1-line block ×3, first 2 shown]
	v_rcp_f32_e32 v13, v8
	v_add_f32_e32 v11, v9, v10
	v_sub_f32_e32 v9, v11, v9
	v_sub_f32_e32 v9, v10, v9
	v_sub_f32_e32 v10, v8, v12
	v_sub_f32_e32 v7, v7, v10
	v_mul_f32_e32 v10, v11, v13
	v_mul_f32_e32 v12, v8, v10
	v_fma_f32 v39, v10, v8, -v12
	v_fmac_f32_e32 v39, v10, v7
	v_add_f32_e32 v40, v12, v39
	v_sub_f32_e32 v41, v11, v40
	v_sub_f32_e32 v11, v11, v41
	;; [unrolled: 1-line block ×4, first 2 shown]
	v_add_f32_e32 v9, v9, v11
	v_sub_f32_e32 v11, v12, v39
	v_add_f32_e32 v9, v11, v9
	v_add_f32_e32 v11, v41, v9
	v_mul_f32_e32 v12, v13, v11
	v_mul_f32_e32 v39, v8, v12
	v_fma_f32 v8, v12, v8, -v39
	v_fmac_f32_e32 v8, v12, v7
	v_sub_f32_e32 v7, v41, v11
	v_add_f32_e32 v7, v9, v7
	v_add_f32_e32 v9, v39, v8
	v_sub_f32_e32 v40, v11, v9
	v_sub_f32_e32 v11, v11, v40
	;; [unrolled: 1-line block ×4, first 2 shown]
	v_add_f32_e32 v7, v7, v9
	v_sub_f32_e32 v8, v39, v8
	v_add_f32_e32 v7, v8, v7
	v_add_f32_e32 v8, v10, v12
	;; [unrolled: 1-line block ×3, first 2 shown]
	v_sub_f32_e32 v9, v8, v10
	v_mul_f32_e32 v7, v13, v7
	v_sub_f32_e32 v9, v12, v9
	v_add_f32_e32 v7, v9, v7
	v_cvt_f32_i32_e32 v6, v6
	v_add_f32_e32 v9, v8, v7
	v_mul_f32_e32 v10, v9, v9
	v_mov_b32_e32 v11, 0x3ecc95a3
	v_fmac_f32_e32 v11, 0x3e9b6dac, v10
	v_mov_b32_e32 v12, 0x3f2aaada
	v_fmac_f32_e32 v12, v10, v11
	s_mov_b32 s4, 0x3f317218
	v_mul_f32_e32 v11, 0x3f317218, v6
	v_fma_f32 v13, v6, s4, -v11
	v_fmac_f32_e32 v13, 0xb102e308, v6
	v_sub_f32_e32 v6, v9, v8
	v_sub_f32_e32 v6, v7, v6
	v_add_f32_e32 v7, v11, v13
	v_sub_f32_e32 v8, v7, v11
	v_ldexp_f32 v11, v9, 1
	v_mul_f32_e32 v9, v9, v10
	v_mul_f32_e32 v9, v9, v12
	v_add_f32_e32 v10, v11, v9
	v_sub_f32_e32 v11, v10, v11
	v_ldexp_f32 v6, v6, 1
	v_sub_f32_e32 v9, v9, v11
	v_add_f32_e32 v6, v6, v9
	v_add_f32_e32 v9, v10, v6
	v_sub_f32_e32 v10, v9, v10
	v_sub_f32_e32 v6, v6, v10
	v_add_f32_e32 v10, v7, v9
	v_sub_f32_e32 v11, v10, v7
	v_sub_f32_e32 v12, v10, v11
	;; [unrolled: 1-line block ×5, first 2 shown]
	v_add_f32_e32 v7, v9, v7
	v_add_f32_e32 v9, v8, v6
	v_sub_f32_e32 v11, v9, v8
	v_sub_f32_e32 v12, v9, v11
	;; [unrolled: 1-line block ×4, first 2 shown]
	v_add_f32_e32 v7, v9, v7
	v_add_f32_e32 v6, v6, v8
	;; [unrolled: 1-line block ×3, first 2 shown]
	v_sub_f32_e32 v9, v8, v10
	v_sub_f32_e32 v7, v7, v9
	v_add_f32_e32 v6, v6, v7
	s_mov_b32 s4, 0xff800000
	v_add_f32_e32 v6, v8, v6
	v_cmp_eq_f32_e32 vcc, s4, v1
	v_cndmask_b32_e64 v6, v6, -v1, vcc
	v_mov_b32_e32 v7, 0x7fc00000
	v_cmp_nlt_f32_e32 vcc, 1.0, v1
	v_cndmask_b32_e32 v6, v7, v6, vcc
	v_mov_b32_e32 v7, 0xff800000
	v_cmp_neq_f32_e32 vcc, 1.0, v1
	s_mov_b32 s4, 0x33800000
	v_cndmask_b32_e32 v6, v7, v6, vcc
	v_cmp_lt_f32_e64 s[4:5], |v1|, s4
	v_cndmask_b32_e64 v39, v6, -v1, s[4:5]
	s_mul_i32 s4, s6, s7
	v_add_u32_e32 v1, s4, v0
	s_mul_i32 s4, s21, s23
	s_mul_i32 s4, s4, s7
	s_lshl_b32 s22, s4, 2
	s_mul_i32 s4, s21, 3
	s_add_i32 s4, s6, s4
	s_mul_i32 s4, s4, s7
	v_mul_lo_u32 v40, s23, v1
	v_add_u32_e32 v1, s4, v0
	s_lshl_b32 s4, s21, 1
	s_add_i32 s4, s6, s4
	s_mul_i32 s4, s4, s7
	v_mul_lo_u32 v41, s23, v1
	v_add_u32_e32 v1, s4, v0
	s_add_i32 s4, s6, s21
	s_mul_i32 s4, s4, s7
	s_mov_b32 s14, 0
	v_add_u32_e32 v0, s4, v0
	s_lshl_b32 s17, s12, 1
	s_mov_b32 s18, s14
	s_mul_i32 s19, s12, 3
	s_mov_b32 s20, s14
	v_mul_lo_u32 v42, s23, v1
	v_mul_lo_u32 v43, s23, v0
	s_mov_b64 s[4:5], 0
	s_mov_b32 s21, 0x800000
	s_mov_b32 s23, 0x3f317217
	;; [unrolled: 1-line block ×3, first 2 shown]
	v_mov_b32_e32 v44, 0x4f800000
	v_mov_b32_e32 v45, 0x41b17218
	s_mov_b32 s25, s14
	v_mov_b32_e32 v46, v16
	v_mov_b32_e32 v47, v17
	s_branch .LBB2_8
.LBB2_7:                                ;   in Loop: Header=BB2_8 Depth=1
	s_or_b64 exec, exec, s[6:7]
	v_add_co_u32_e32 v16, vcc, s13, v16
	v_addc_co_u32_e32 v17, vcc, 0, v17, vcc
	v_mov_b32_e32 v9, v0
	s_add_i32 s25, s25, s22
	v_cmp_le_i64_e32 vcc, s[2:3], v[16:17]
	v_pk_mov_b32 v[2:3], v[6:7], v[6:7] op_sel:[0,1]
	s_or_b64 s[4:5], vcc, s[4:5]
	v_pk_mov_b32 v[4:5], v[8:9], v[8:9] op_sel:[0,1]
	s_barrier
	s_andn2_b64 exec, exec, s[4:5]
	s_cbranch_execz .LBB2_26
.LBB2_8:                                ; =>This Inner Loop Header: Depth=1
	v_add_co_u32_e32 v29, vcc, 1, v29
	v_cndmask_b32_e64 v0, 0, 1, vcc
	v_addc_co_u32_e32 v30, vcc, 0, v30, vcc
	v_cmp_eq_u32_e32 vcc, 0, v30
	v_cndmask_b32_e32 v0, 0, v0, vcc
	v_add_u32_e32 v46, v0, v46
	v_cmp_eq_u32_e32 vcc, 0, v46
	v_cndmask_b32_e32 v0, 0, v0, vcc
	v_add_u32_e32 v47, v0, v47
	v_mad_u64_u32 v[0:1], s[6:7], v29, s15, 0
	v_mad_u64_u32 v[6:7], s[6:7], v46, s16, 0
	v_xor_b32_e32 v1, v1, v15
	v_xor_b32_e32 v7, v7, v14
	v_xor_b32_e32 v1, v47, v1
	v_xor_b32_e32 v7, v30, v7
	v_mad_u64_u32 v[10:11], s[6:7], v1, s16, 0
	v_mad_u64_u32 v[8:9], s[6:7], v7, s15, 0
	v_xor_b32_e32 v1, v28, v11
	v_xor_b32_e32 v1, v1, v6
	v_xor_b32_e32 v6, v31, v9
	v_xor_b32_e32 v6, v6, v0
	;; [unrolled: 6-line block ×10, first 2 shown]
	v_mov_b32_e32 v7, v12
	v_mov_b32_e32 v8, v13
	v_cmp_lt_i32_e32 vcc, 1, v18
	s_and_saveexec_b64 s[6:7], vcc
	s_xor_b64 s[6:7], exec, s[6:7]
	s_cbranch_execnz .LBB2_18
; %bb.9:                                ;   in Loop: Header=BB2_8 Depth=1
	s_andn2_saveexec_b64 s[6:7], s[6:7]
	s_cbranch_execnz .LBB2_23
.LBB2_10:                               ;   in Loop: Header=BB2_8 Depth=1
	s_or_b64 exec, exec, s[6:7]
	v_cmp_gt_i64_e32 vcc, s[0:1], v[16:17]
	s_and_saveexec_b64 s[6:7], vcc
	s_cbranch_execz .LBB2_12
.LBB2_11:                               ;   in Loop: Header=BB2_8 Depth=1
	v_cvt_f32_u32_e32 v1, v2
	v_mov_b32_e32 v2, 0x2f800000
	v_mov_b32_e32 v11, s9
	v_fmac_f32_e32 v2, 0x2f800000, v1
	v_cmp_gt_f32_e32 vcc, s21, v2
	v_cndmask_b32_e32 v1, 1.0, v44, vcc
	v_mul_f32_e32 v1, v2, v1
	v_log_f32_e32 v1, v1
	v_cndmask_b32_e32 v2, 0, v45, vcc
	v_mul_f32_e32 v9, 0x3f317217, v1
	v_fma_f32 v10, v1, s23, -v9
	v_fmac_f32_e32 v10, 0x3377d1cf, v1
	v_add_f32_e32 v9, v9, v10
	v_cmp_lt_f32_e64 vcc, |v1|, s24
	v_cndmask_b32_e32 v1, v1, v9, vcc
	v_sub_f32_e32 v1, v1, v2
	v_div_scale_f32 v2, s[10:11], v39, v39, v1
	v_rcp_f32_e32 v9, v2
	v_add_u32_e32 v10, s25, v40
	v_ashrrev_i32_e32 v12, 31, v10
	v_fma_f32 v13, -v2, v9, 1.0
	v_fmac_f32_e32 v9, v13, v9
	v_div_scale_f32 v13, vcc, v1, v39, v1
	v_mul_f32_e32 v48, v13, v9
	v_fma_f32 v49, -v2, v48, v13
	v_fmac_f32_e32 v48, v49, v9
	v_fma_f32 v2, -v2, v48, v13
	v_div_fmas_f32 v2, v2, v9, v48
	v_div_fixup_f32 v1, v2, v39, v1
	v_ceil_f32_e32 v1, v1
	v_cvt_i32_f32_e32 v1, v1
	v_add_co_u32_e32 v10, vcc, s8, v10
	v_addc_co_u32_e32 v11, vcc, v11, v12, vcc
	global_store_byte v[10:11], v1, off
.LBB2_12:                               ;   in Loop: Header=BB2_8 Depth=1
	s_or_b64 exec, exec, s[6:7]
	v_mov_b32_e32 v1, s14
	v_add_co_u32_e32 v10, vcc, s12, v16
	v_addc_co_u32_e32 v11, vcc, v1, v17, vcc
	v_cmp_gt_i64_e32 vcc, s[0:1], v[10:11]
	s_and_saveexec_b64 s[6:7], vcc
	s_cbranch_execz .LBB2_14
; %bb.13:                               ;   in Loop: Header=BB2_8 Depth=1
	v_cvt_f32_u32_e32 v1, v3
	v_mov_b32_e32 v2, 0x2f800000
	v_mov_b32_e32 v10, s9
	v_fmac_f32_e32 v2, 0x2f800000, v1
	v_cmp_gt_f32_e32 vcc, s21, v2
	v_cndmask_b32_e32 v1, 1.0, v44, vcc
	v_mul_f32_e32 v1, v2, v1
	v_log_f32_e32 v1, v1
	v_cndmask_b32_e32 v2, 0, v45, vcc
	v_mul_f32_e32 v3, 0x3f317217, v1
	v_fma_f32 v9, v1, s23, -v3
	v_fmac_f32_e32 v9, 0x3377d1cf, v1
	v_add_f32_e32 v3, v3, v9
	v_cmp_lt_f32_e64 vcc, |v1|, s24
	v_cndmask_b32_e32 v1, v1, v3, vcc
	v_sub_f32_e32 v1, v1, v2
	v_div_scale_f32 v2, s[10:11], v39, v39, v1
	v_rcp_f32_e32 v3, v2
	v_add_u32_e32 v9, s25, v43
	v_ashrrev_i32_e32 v11, 31, v9
	v_fma_f32 v12, -v2, v3, 1.0
	v_fmac_f32_e32 v3, v12, v3
	v_div_scale_f32 v12, vcc, v1, v39, v1
	v_mul_f32_e32 v13, v12, v3
	v_fma_f32 v48, -v2, v13, v12
	v_fmac_f32_e32 v13, v48, v3
	v_fma_f32 v2, -v2, v13, v12
	v_div_fmas_f32 v2, v2, v3, v13
	v_div_fixup_f32 v1, v2, v39, v1
	v_ceil_f32_e32 v1, v1
	v_cvt_i32_f32_e32 v1, v1
	v_add_co_u32_e32 v2, vcc, s8, v9
	v_addc_co_u32_e32 v3, vcc, v10, v11, vcc
	global_store_byte v[2:3], v1, off
.LBB2_14:                               ;   in Loop: Header=BB2_8 Depth=1
	s_or_b64 exec, exec, s[6:7]
	v_mov_b32_e32 v1, s18
	v_add_co_u32_e32 v2, vcc, s17, v16
	v_addc_co_u32_e32 v3, vcc, v1, v17, vcc
	v_cmp_gt_i64_e32 vcc, s[0:1], v[2:3]
	s_and_saveexec_b64 s[6:7], vcc
	s_cbranch_execz .LBB2_16
; %bb.15:                               ;   in Loop: Header=BB2_8 Depth=1
	v_cvt_f32_u32_e32 v1, v4
	v_mov_b32_e32 v2, 0x2f800000
	v_mov_b32_e32 v9, s9
	v_fmac_f32_e32 v2, 0x2f800000, v1
	v_cmp_gt_f32_e32 vcc, s21, v2
	v_cndmask_b32_e32 v1, 1.0, v44, vcc
	v_mul_f32_e32 v1, v2, v1
	v_log_f32_e32 v1, v1
	v_cndmask_b32_e32 v2, 0, v45, vcc
	v_mul_f32_e32 v3, 0x3f317217, v1
	v_fma_f32 v4, v1, s23, -v3
	v_fmac_f32_e32 v4, 0x3377d1cf, v1
	v_add_f32_e32 v3, v3, v4
	v_cmp_lt_f32_e64 vcc, |v1|, s24
	v_cndmask_b32_e32 v1, v1, v3, vcc
	v_sub_f32_e32 v1, v1, v2
	v_div_scale_f32 v2, s[10:11], v39, v39, v1
	v_rcp_f32_e32 v3, v2
	v_add_u32_e32 v4, s25, v42
	v_ashrrev_i32_e32 v10, 31, v4
	v_fma_f32 v11, -v2, v3, 1.0
	v_fmac_f32_e32 v3, v11, v3
	v_div_scale_f32 v11, vcc, v1, v39, v1
	v_mul_f32_e32 v12, v11, v3
	v_fma_f32 v13, -v2, v12, v11
	v_fmac_f32_e32 v12, v13, v3
	v_fma_f32 v2, -v2, v12, v11
	v_div_fmas_f32 v2, v2, v3, v12
	v_div_fixup_f32 v1, v2, v39, v1
	v_ceil_f32_e32 v1, v1
	v_cvt_i32_f32_e32 v1, v1
	v_add_co_u32_e32 v2, vcc, s8, v4
	v_addc_co_u32_e32 v3, vcc, v9, v10, vcc
	global_store_byte v[2:3], v1, off
.LBB2_16:                               ;   in Loop: Header=BB2_8 Depth=1
	s_or_b64 exec, exec, s[6:7]
	v_mov_b32_e32 v1, s20
	v_add_co_u32_e32 v2, vcc, s19, v16
	v_addc_co_u32_e32 v3, vcc, v1, v17, vcc
	v_cmp_gt_i64_e32 vcc, s[0:1], v[2:3]
	s_and_saveexec_b64 s[6:7], vcc
	s_cbranch_execz .LBB2_7
; %bb.17:                               ;   in Loop: Header=BB2_8 Depth=1
	v_cvt_f32_u32_e32 v1, v5
	v_mov_b32_e32 v2, 0x2f800000
	v_mov_b32_e32 v5, s9
	v_fmac_f32_e32 v2, 0x2f800000, v1
	v_cmp_gt_f32_e32 vcc, s21, v2
	v_cndmask_b32_e32 v1, 1.0, v44, vcc
	v_mul_f32_e32 v1, v2, v1
	v_log_f32_e32 v1, v1
	v_cndmask_b32_e32 v2, 0, v45, vcc
	v_mul_f32_e32 v3, 0x3f317217, v1
	v_fma_f32 v4, v1, s23, -v3
	v_fmac_f32_e32 v4, 0x3377d1cf, v1
	v_add_f32_e32 v3, v3, v4
	v_cmp_lt_f32_e64 vcc, |v1|, s24
	v_cndmask_b32_e32 v1, v1, v3, vcc
	v_sub_f32_e32 v1, v1, v2
	v_div_scale_f32 v2, s[10:11], v39, v39, v1
	v_rcp_f32_e32 v3, v2
	v_add_u32_e32 v4, s25, v41
	v_ashrrev_i32_e32 v9, 31, v4
	v_fma_f32 v10, -v2, v3, 1.0
	v_fmac_f32_e32 v3, v10, v3
	v_div_scale_f32 v10, vcc, v1, v39, v1
	v_mul_f32_e32 v11, v10, v3
	v_fma_f32 v12, -v2, v11, v10
	v_fmac_f32_e32 v11, v12, v3
	v_fma_f32 v2, -v2, v11, v10
	v_div_fmas_f32 v2, v2, v3, v11
	v_div_fixup_f32 v1, v2, v39, v1
	v_ceil_f32_e32 v1, v1
	v_cvt_i32_f32_e32 v1, v1
	v_add_co_u32_e32 v2, vcc, s8, v4
	v_addc_co_u32_e32 v3, vcc, v5, v9, vcc
	global_store_byte v[2:3], v1, off
	s_branch .LBB2_7
.LBB2_18:                               ;   in Loop: Header=BB2_8 Depth=1
	v_cmp_lt_i32_e32 vcc, 2, v18
	s_and_saveexec_b64 s[10:11], vcc
	s_xor_b64 s[10:11], exec, s[10:11]
; %bb.19:                               ;   in Loop: Header=BB2_8 Depth=1
	v_mov_b32_e32 v10, v5
	v_mov_b32_e32 v11, v6
	v_pk_mov_b32 v[2:3], v[10:11], v[10:11] op_sel:[0,1]
	v_pk_mov_b32 v[4:5], v[12:13], v[12:13] op_sel:[0,1]
                                        ; implicit-def: $vgpr12_vgpr13
; %bb.20:                               ;   in Loop: Header=BB2_8 Depth=1
	s_andn2_saveexec_b64 s[10:11], s[10:11]
; %bb.21:                               ;   in Loop: Header=BB2_8 Depth=1
	v_mov_b32_e32 v2, v4
	v_mov_b32_e32 v3, v5
	;; [unrolled: 1-line block ×4, first 2 shown]
; %bb.22:                               ;   in Loop: Header=BB2_8 Depth=1
	s_or_b64 exec, exec, s[10:11]
	s_andn2_saveexec_b64 s[6:7], s[6:7]
	s_cbranch_execz .LBB2_10
.LBB2_23:                               ;   in Loop: Header=BB2_8 Depth=1
	v_cmp_eq_u32_e32 vcc, 1, v18
	s_and_saveexec_b64 s[10:11], vcc
; %bb.24:                               ;   in Loop: Header=BB2_8 Depth=1
	v_mov_b32_e32 v2, v3
	v_mov_b32_e32 v3, v4
	;; [unrolled: 1-line block ×4, first 2 shown]
; %bb.25:                               ;   in Loop: Header=BB2_8 Depth=1
	s_or_b64 exec, exec, s[10:11]
	s_or_b64 exec, exec, s[6:7]
	v_cmp_gt_i64_e32 vcc, s[0:1], v[16:17]
	s_and_saveexec_b64 s[6:7], vcc
	s_cbranch_execnz .LBB2_11
	s_branch .LBB2_12
.LBB2_26:
	s_endpgm
.LBB2_27:
                                        ; implicit-def: $sgpr8_sgpr9
	s_andn2_b64 vcc, exec, s[2:3]
	s_cbranch_vccz .LBB2_4
	s_branch .LBB2_5
	.section	.rodata,"a",@progbits
	.p2align	6, 0x0
	.amdhsa_kernel _ZN2at6native12_GLOBAL__N_143distribution_elementwise_grid_stride_kernelIfLi4EZNS0_9templates4cuda21uniform_and_transformIhfPNS_17CUDAGeneratorImplEZZZNS4_16geometric_kernelIS7_EEvRNS_18TensorIteratorBaseEdT_ENKUlvE_clEvENKUlvE_clEvEUlfE_EEvSA_T1_T2_EUlP25hiprandStatePhilox4_32_10E0_ZNS1_27distribution_nullary_kernelIhf15HIP_vector_typeIfLj4EES7_SJ_SE_EEvSA_SG_RKT3_T4_EUlifE_EEvlNS_15PhiloxCudaStateESF_SG_
		.amdhsa_group_segment_fixed_size 0
		.amdhsa_private_segment_fixed_size 0
		.amdhsa_kernarg_size 328
		.amdhsa_user_sgpr_count 6
		.amdhsa_user_sgpr_private_segment_buffer 1
		.amdhsa_user_sgpr_dispatch_ptr 0
		.amdhsa_user_sgpr_queue_ptr 0
		.amdhsa_user_sgpr_kernarg_segment_ptr 1
		.amdhsa_user_sgpr_dispatch_id 0
		.amdhsa_user_sgpr_flat_scratch_init 0
		.amdhsa_user_sgpr_kernarg_preload_length 0
		.amdhsa_user_sgpr_kernarg_preload_offset 0
		.amdhsa_user_sgpr_private_segment_size 0
		.amdhsa_uses_dynamic_stack 0
		.amdhsa_system_sgpr_private_segment_wavefront_offset 0
		.amdhsa_system_sgpr_workgroup_id_x 1
		.amdhsa_system_sgpr_workgroup_id_y 0
		.amdhsa_system_sgpr_workgroup_id_z 0
		.amdhsa_system_sgpr_workgroup_info 0
		.amdhsa_system_vgpr_workitem_id 0
		.amdhsa_next_free_vgpr 50
		.amdhsa_next_free_sgpr 26
		.amdhsa_accum_offset 52
		.amdhsa_reserve_vcc 1
		.amdhsa_reserve_flat_scratch 0
		.amdhsa_float_round_mode_32 0
		.amdhsa_float_round_mode_16_64 0
		.amdhsa_float_denorm_mode_32 3
		.amdhsa_float_denorm_mode_16_64 3
		.amdhsa_dx10_clamp 1
		.amdhsa_ieee_mode 1
		.amdhsa_fp16_overflow 0
		.amdhsa_tg_split 0
		.amdhsa_exception_fp_ieee_invalid_op 0
		.amdhsa_exception_fp_denorm_src 0
		.amdhsa_exception_fp_ieee_div_zero 0
		.amdhsa_exception_fp_ieee_overflow 0
		.amdhsa_exception_fp_ieee_underflow 0
		.amdhsa_exception_fp_ieee_inexact 0
		.amdhsa_exception_int_div_zero 0
	.end_amdhsa_kernel
	.section	.text._ZN2at6native12_GLOBAL__N_143distribution_elementwise_grid_stride_kernelIfLi4EZNS0_9templates4cuda21uniform_and_transformIhfPNS_17CUDAGeneratorImplEZZZNS4_16geometric_kernelIS7_EEvRNS_18TensorIteratorBaseEdT_ENKUlvE_clEvENKUlvE_clEvEUlfE_EEvSA_T1_T2_EUlP25hiprandStatePhilox4_32_10E0_ZNS1_27distribution_nullary_kernelIhf15HIP_vector_typeIfLj4EES7_SJ_SE_EEvSA_SG_RKT3_T4_EUlifE_EEvlNS_15PhiloxCudaStateESF_SG_,"axG",@progbits,_ZN2at6native12_GLOBAL__N_143distribution_elementwise_grid_stride_kernelIfLi4EZNS0_9templates4cuda21uniform_and_transformIhfPNS_17CUDAGeneratorImplEZZZNS4_16geometric_kernelIS7_EEvRNS_18TensorIteratorBaseEdT_ENKUlvE_clEvENKUlvE_clEvEUlfE_EEvSA_T1_T2_EUlP25hiprandStatePhilox4_32_10E0_ZNS1_27distribution_nullary_kernelIhf15HIP_vector_typeIfLj4EES7_SJ_SE_EEvSA_SG_RKT3_T4_EUlifE_EEvlNS_15PhiloxCudaStateESF_SG_,comdat
.Lfunc_end2:
	.size	_ZN2at6native12_GLOBAL__N_143distribution_elementwise_grid_stride_kernelIfLi4EZNS0_9templates4cuda21uniform_and_transformIhfPNS_17CUDAGeneratorImplEZZZNS4_16geometric_kernelIS7_EEvRNS_18TensorIteratorBaseEdT_ENKUlvE_clEvENKUlvE_clEvEUlfE_EEvSA_T1_T2_EUlP25hiprandStatePhilox4_32_10E0_ZNS1_27distribution_nullary_kernelIhf15HIP_vector_typeIfLj4EES7_SJ_SE_EEvSA_SG_RKT3_T4_EUlifE_EEvlNS_15PhiloxCudaStateESF_SG_, .Lfunc_end2-_ZN2at6native12_GLOBAL__N_143distribution_elementwise_grid_stride_kernelIfLi4EZNS0_9templates4cuda21uniform_and_transformIhfPNS_17CUDAGeneratorImplEZZZNS4_16geometric_kernelIS7_EEvRNS_18TensorIteratorBaseEdT_ENKUlvE_clEvENKUlvE_clEvEUlfE_EEvSA_T1_T2_EUlP25hiprandStatePhilox4_32_10E0_ZNS1_27distribution_nullary_kernelIhf15HIP_vector_typeIfLj4EES7_SJ_SE_EEvSA_SG_RKT3_T4_EUlifE_EEvlNS_15PhiloxCudaStateESF_SG_
                                        ; -- End function
	.section	.AMDGPU.csdata,"",@progbits
; Kernel info:
; codeLenInByte = 3612
; NumSgprs: 30
; NumVgprs: 50
; NumAgprs: 0
; TotalNumVgprs: 50
; ScratchSize: 0
; MemoryBound: 0
; FloatMode: 240
; IeeeMode: 1
; LDSByteSize: 0 bytes/workgroup (compile time only)
; SGPRBlocks: 3
; VGPRBlocks: 6
; NumSGPRsForWavesPerEU: 30
; NumVGPRsForWavesPerEU: 50
; AccumOffset: 52
; Occupancy: 8
; WaveLimiterHint : 0
; COMPUTE_PGM_RSRC2:SCRATCH_EN: 0
; COMPUTE_PGM_RSRC2:USER_SGPR: 6
; COMPUTE_PGM_RSRC2:TRAP_HANDLER: 0
; COMPUTE_PGM_RSRC2:TGID_X_EN: 1
; COMPUTE_PGM_RSRC2:TGID_Y_EN: 0
; COMPUTE_PGM_RSRC2:TGID_Z_EN: 0
; COMPUTE_PGM_RSRC2:TIDIG_COMP_CNT: 0
; COMPUTE_PGM_RSRC3_GFX90A:ACCUM_OFFSET: 12
; COMPUTE_PGM_RSRC3_GFX90A:TG_SPLIT: 0
	.section	.text._ZN2at6native12_GLOBAL__N_143distribution_elementwise_grid_stride_kernelIfLi4EZNS0_9templates4cuda21uniform_and_transformIhfPNS_17CUDAGeneratorImplEZZZNS4_16geometric_kernelIS7_EEvRNS_18TensorIteratorBaseEdT_ENKUlvE_clEvENKUlvE_clEvEUlfE_EEvSA_T1_T2_EUlP25hiprandStatePhilox4_32_10E0_ZNS1_27distribution_nullary_kernelIhf15HIP_vector_typeIfLj4EES7_SJ_SE_EEvSA_SG_RKT3_T4_EUlifE0_EEvlNS_15PhiloxCudaStateESF_SG_,"axG",@progbits,_ZN2at6native12_GLOBAL__N_143distribution_elementwise_grid_stride_kernelIfLi4EZNS0_9templates4cuda21uniform_and_transformIhfPNS_17CUDAGeneratorImplEZZZNS4_16geometric_kernelIS7_EEvRNS_18TensorIteratorBaseEdT_ENKUlvE_clEvENKUlvE_clEvEUlfE_EEvSA_T1_T2_EUlP25hiprandStatePhilox4_32_10E0_ZNS1_27distribution_nullary_kernelIhf15HIP_vector_typeIfLj4EES7_SJ_SE_EEvSA_SG_RKT3_T4_EUlifE0_EEvlNS_15PhiloxCudaStateESF_SG_,comdat
	.globl	_ZN2at6native12_GLOBAL__N_143distribution_elementwise_grid_stride_kernelIfLi4EZNS0_9templates4cuda21uniform_and_transformIhfPNS_17CUDAGeneratorImplEZZZNS4_16geometric_kernelIS7_EEvRNS_18TensorIteratorBaseEdT_ENKUlvE_clEvENKUlvE_clEvEUlfE_EEvSA_T1_T2_EUlP25hiprandStatePhilox4_32_10E0_ZNS1_27distribution_nullary_kernelIhf15HIP_vector_typeIfLj4EES7_SJ_SE_EEvSA_SG_RKT3_T4_EUlifE0_EEvlNS_15PhiloxCudaStateESF_SG_ ; -- Begin function _ZN2at6native12_GLOBAL__N_143distribution_elementwise_grid_stride_kernelIfLi4EZNS0_9templates4cuda21uniform_and_transformIhfPNS_17CUDAGeneratorImplEZZZNS4_16geometric_kernelIS7_EEvRNS_18TensorIteratorBaseEdT_ENKUlvE_clEvENKUlvE_clEvEUlfE_EEvSA_T1_T2_EUlP25hiprandStatePhilox4_32_10E0_ZNS1_27distribution_nullary_kernelIhf15HIP_vector_typeIfLj4EES7_SJ_SE_EEvSA_SG_RKT3_T4_EUlifE0_EEvlNS_15PhiloxCudaStateESF_SG_
	.p2align	8
	.type	_ZN2at6native12_GLOBAL__N_143distribution_elementwise_grid_stride_kernelIfLi4EZNS0_9templates4cuda21uniform_and_transformIhfPNS_17CUDAGeneratorImplEZZZNS4_16geometric_kernelIS7_EEvRNS_18TensorIteratorBaseEdT_ENKUlvE_clEvENKUlvE_clEvEUlfE_EEvSA_T1_T2_EUlP25hiprandStatePhilox4_32_10E0_ZNS1_27distribution_nullary_kernelIhf15HIP_vector_typeIfLj4EES7_SJ_SE_EEvSA_SG_RKT3_T4_EUlifE0_EEvlNS_15PhiloxCudaStateESF_SG_,@function
_ZN2at6native12_GLOBAL__N_143distribution_elementwise_grid_stride_kernelIfLi4EZNS0_9templates4cuda21uniform_and_transformIhfPNS_17CUDAGeneratorImplEZZZNS4_16geometric_kernelIS7_EEvRNS_18TensorIteratorBaseEdT_ENKUlvE_clEvENKUlvE_clEvEUlfE_EEvSA_T1_T2_EUlP25hiprandStatePhilox4_32_10E0_ZNS1_27distribution_nullary_kernelIhf15HIP_vector_typeIfLj4EES7_SJ_SE_EEvSA_SG_RKT3_T4_EUlifE0_EEvlNS_15PhiloxCudaStateESF_SG_: ; @_ZN2at6native12_GLOBAL__N_143distribution_elementwise_grid_stride_kernelIfLi4EZNS0_9templates4cuda21uniform_and_transformIhfPNS_17CUDAGeneratorImplEZZZNS4_16geometric_kernelIS7_EEvRNS_18TensorIteratorBaseEdT_ENKUlvE_clEvENKUlvE_clEvEUlfE_EEvSA_T1_T2_EUlP25hiprandStatePhilox4_32_10E0_ZNS1_27distribution_nullary_kernelIhf15HIP_vector_typeIfLj4EES7_SJ_SE_EEvSA_SG_RKT3_T4_EUlifE0_EEvlNS_15PhiloxCudaStateESF_SG_
; %bb.0:
	s_load_dword s2, s[4:5], 0x20
	s_load_dwordx2 s[0:1], s[4:5], 0x10
	s_load_dwordx4 s[24:27], s[4:5], 0x0
	s_waitcnt lgkmcnt(0)
	s_bitcmp0_b32 s2, 0
	s_mov_b32 s2, 0
	v_pk_mov_b32 v[2:3], s[0:1], s[0:1] op_sel:[0,1]
	v_pk_mov_b32 v[12:13], s[26:27], s[26:27] op_sel:[0,1]
	s_cbranch_scc1 .LBB3_2
; %bb.1:
	v_pk_mov_b32 v[2:3], s[0:1], s[0:1] op_sel:[0,1]
	flat_load_dwordx2 v[2:3], v[2:3]
	v_pk_mov_b32 v[4:5], s[26:27], s[26:27] op_sel:[0,1]
	flat_load_dwordx2 v[12:13], v[4:5]
	s_load_dwordx2 s[0:1], s[4:5], 0x18
	s_waitcnt lgkmcnt(0)
	v_mov_b32_e32 v1, s1
	s_waitcnt vmcnt(0)
	v_add_co_u32_e32 v2, vcc, s0, v2
	v_addc_co_u32_e32 v3, vcc, v3, v1, vcc
.LBB3_2:
	s_load_dword s0, s[4:5], 0x154
	s_load_dword s7, s[4:5], 0x148
	s_waitcnt lgkmcnt(0)
	s_and_b32 s8, s0, 0xffff
	s_add_u32 s9, s24, -1
	s_mul_i32 s33, s7, s8
	s_addc_u32 s3, s25, -1
	s_lshl_b32 s58, s33, 2
	s_cmp_lg_u64 s[2:3], 0
	s_mov_b64 s[0:1], -1
	s_cbranch_scc0 .LBB3_83
; %bb.3:
	v_cvt_f32_u32_e32 v1, s58
	v_cvt_f32_ubyte0_e32 v4, 0
	s_sub_u32 s2, 0, s58
	s_subb_u32 s10, 0, 0
	v_madmk_f32 v1, v4, 0x4f800000, v1
	v_rcp_f32_e32 v1, v1
	v_mul_f32_e32 v1, 0x5f7ffffc, v1
	v_mul_f32_e32 v4, 0x2f800000, v1
	v_trunc_f32_e32 v4, v4
	v_madmk_f32 v1, v4, 0xcf800000, v1
	v_cvt_u32_f32_e32 v4, v4
	v_cvt_u32_f32_e32 v1, v1
	v_readfirstlane_b32 s11, v4
	v_readfirstlane_b32 s12, v1
	s_mul_i32 s13, s2, s11
	s_mul_hi_u32 s15, s2, s12
	s_mul_i32 s14, s10, s12
	s_add_i32 s13, s15, s13
	s_add_i32 s13, s13, s14
	s_mul_i32 s16, s2, s12
	s_mul_hi_u32 s14, s12, s13
	s_mul_i32 s15, s12, s13
	s_mul_hi_u32 s12, s12, s16
	s_add_u32 s12, s12, s15
	s_addc_u32 s14, 0, s14
	s_mul_hi_u32 s17, s11, s16
	s_mul_i32 s16, s11, s16
	s_add_u32 s12, s12, s16
	s_mul_hi_u32 s15, s11, s13
	s_addc_u32 s12, s14, s17
	s_addc_u32 s14, s15, 0
	s_mul_i32 s13, s11, s13
	s_add_u32 s12, s12, s13
	s_addc_u32 s13, 0, s14
	v_add_co_u32_e32 v1, vcc, s12, v1
	s_cmp_lg_u64 vcc, 0
	s_addc_u32 s11, s11, s13
	v_readfirstlane_b32 s13, v1
	s_mul_i32 s12, s2, s11
	s_mul_hi_u32 s14, s2, s13
	s_add_i32 s12, s14, s12
	s_mul_i32 s10, s10, s13
	s_add_i32 s12, s12, s10
	s_mul_i32 s2, s2, s13
	s_mul_hi_u32 s14, s11, s2
	s_mul_i32 s15, s11, s2
	s_mul_i32 s17, s13, s12
	s_mul_hi_u32 s2, s13, s2
	s_mul_hi_u32 s16, s13, s12
	s_add_u32 s2, s2, s17
	s_addc_u32 s13, 0, s16
	s_add_u32 s2, s2, s15
	s_mul_hi_u32 s10, s11, s12
	s_addc_u32 s2, s13, s14
	s_addc_u32 s10, s10, 0
	s_mul_i32 s12, s11, s12
	s_add_u32 s2, s2, s12
	s_addc_u32 s10, 0, s10
	v_add_co_u32_e32 v1, vcc, s2, v1
	s_cmp_lg_u64 vcc, 0
	s_addc_u32 s12, s11, s10
	s_ashr_i32 s10, s3, 31
	s_add_u32 s2, s9, s10
	s_mov_b32 s11, s10
	s_addc_u32 s3, s3, s10
	s_xor_b64 s[2:3], s[2:3], s[10:11]
	v_readfirstlane_b32 s15, v1
	s_mul_i32 s14, s2, s12
	s_mul_hi_u32 s16, s2, s15
	s_mul_hi_u32 s13, s2, s12
	s_add_u32 s14, s16, s14
	s_addc_u32 s13, 0, s13
	s_mul_hi_u32 s17, s3, s15
	s_mul_i32 s15, s3, s15
	s_add_u32 s14, s14, s15
	s_mul_hi_u32 s16, s3, s12
	s_addc_u32 s13, s13, s17
	s_addc_u32 s14, s16, 0
	s_mul_i32 s12, s3, s12
	s_add_u32 s12, s13, s12
	s_addc_u32 s13, 0, s14
	s_add_u32 s14, s12, 1
	s_addc_u32 s15, s13, 0
	s_add_u32 s16, s12, 2
	s_mul_i32 s18, s58, s13
	s_mul_hi_u32 s19, s58, s12
	s_addc_u32 s17, s13, 0
	s_add_i32 s19, s19, s18
	s_mul_i32 s18, s58, s12
	v_mov_b32_e32 v1, s18
	v_sub_co_u32_e32 v1, vcc, s2, v1
	s_cmp_lg_u64 vcc, 0
	s_subb_u32 s2, s3, s19
	v_subrev_co_u32_e32 v4, vcc, s58, v1
	s_cmp_lg_u64 vcc, 0
	s_subb_u32 s3, s2, 0
	v_readfirstlane_b32 s18, v4
	s_cmp_ge_u32 s18, s58
	s_cselect_b32 s18, -1, 0
	s_cmp_eq_u32 s3, 0
	s_cselect_b32 s3, s18, -1
	s_cmp_lg_u32 s3, 0
	s_cselect_b32 s3, s17, s15
	v_readfirstlane_b32 s15, v1
	s_cselect_b32 s14, s16, s14
	s_cmp_ge_u32 s15, s58
	s_cselect_b32 s15, -1, 0
	s_cmp_eq_u32 s2, 0
	s_cselect_b32 s2, s15, -1
	s_cmp_lg_u32 s2, 0
	s_cselect_b32 s3, s3, s13
	s_cselect_b32 s2, s14, s12
	s_xor_b64 s[2:3], s[2:3], s[10:11]
	s_sub_u32 s2, s2, s10
	s_subb_u32 s3, s3, s10
	s_cbranch_execnz .LBB3_5
.LBB3_4:
	v_cvt_f32_u32_e32 v1, s58
	s_sub_i32 s0, 0, s58
	s_mov_b32 s3, 0
	v_rcp_iflag_f32_e32 v1, v1
	v_mul_f32_e32 v1, 0x4f7ffffe, v1
	v_cvt_u32_f32_e32 v1, v1
	v_readfirstlane_b32 s1, v1
	s_mul_i32 s0, s0, s1
	s_mul_hi_u32 s0, s1, s0
	s_add_i32 s1, s1, s0
	s_mul_hi_u32 s0, s9, s1
	s_mul_i32 s2, s0, s58
	s_sub_i32 s2, s9, s2
	s_add_i32 s1, s0, 1
	s_sub_i32 s9, s2, s58
	s_cmp_ge_u32 s2, s58
	s_cselect_b32 s0, s1, s0
	s_cselect_b32 s2, s9, s2
	s_add_i32 s1, s0, 1
	s_cmp_ge_u32 s2, s58
	s_cselect_b32 s2, s1, s0
.LBB3_5:
	v_mov_b32_e32 v1, 0
	v_mov_b32_e32 v4, s6
	v_mad_u64_u32 v[14:15], s[0:1], s8, v4, v[0:1]
	s_add_u32 s0, s2, 1
	s_addc_u32 s1, s3, 0
	s_mul_hi_u32 s2, s7, s8
	s_mul_i32 s1, s33, s1
	s_mul_hi_u32 s3, s33, s0
	s_add_i32 s1, s3, s1
	s_mul_i32 s2, s2, s0
	s_add_i32 s1, s1, s2
	s_mul_i32 s0, s33, s0
	s_lshl_b64 s[26:27], s[0:1], 2
	v_cmp_gt_i64_e32 vcc, s[26:27], v[14:15]
	s_and_saveexec_b64 s[0:1], vcc
	s_cbranch_execz .LBB3_82
; %bb.6:
	s_mov_b32 s0, 0x5384540f
	v_mov_b32_e32 v0, v13
	v_add_co_u32_e32 v22, vcc, s0, v12
	s_mov_b32 s0, 0x646e171e
	v_add_co_u32_e32 v23, vcc, s0, v0
	s_mov_b32 s0, 0x1715609d
	;; [unrolled: 2-line block ×6, first 2 shown]
	v_alignbit_b32 v29, v3, v2, 2
	s_mov_b32 s60, 0xd2511f53
	v_add_co_u32_e32 v28, vcc, s0, v12
	v_mad_u64_u32 v[4:5], s[0:1], v29, s60, 0
	v_xor_b32_e32 v1, v5, v13
	v_xor_b32_e32 v1, v1, v15
	s_mov_b32 s61, 0xcd9e8d57
	v_mad_u64_u32 v[6:7], s[0:1], v1, s61, 0
	v_xor_b32_e32 v1, v28, v7
	v_mad_u64_u32 v[8:9], s[0:1], v14, s61, 0
	v_and_b32_e32 v18, 3, v2
	v_xor_b32_e32 v1, v1, v8
	v_xor_b32_e32 v2, v12, v9
	v_lshrrev_b32_e32 v30, 2, v3
	v_mad_u64_u32 v[10:11], s[0:1], v1, s60, 0
	v_xor_b32_e32 v2, v2, v30
	v_xor_b32_e32 v1, v27, v11
	v_mad_u64_u32 v[2:3], s[0:1], v2, s60, 0
	v_xor_b32_e32 v1, v1, v2
	v_mad_u64_u32 v[8:9], s[0:1], v1, s61, 0
	s_mov_b32 s0, 0xbb67ae85
	v_add_co_u32_e32 v31, vcc, s0, v0
	v_xor_b32_e32 v2, v31, v3
	v_xor_b32_e32 v2, v2, v4
	v_xor_b32_e32 v1, v26, v9
	v_mad_u64_u32 v[2:3], s[0:1], v2, s61, 0
	v_xor_b32_e32 v1, v1, v2
	v_mad_u64_u32 v[4:5], s[0:1], v1, s60, 0
	s_mov_b32 s0, 0x3c6ef372
	v_add_co_u32_e32 v32, vcc, s0, v12
	v_xor_b32_e32 v2, v32, v3
	;; [unrolled: 8-line block ×6, first 2 shown]
	v_add_co_u32_e32 v21, vcc, 0xdb3d7428, v0
	v_xor_b32_e32 v2, v2, v6
	v_xor_b32_e32 v1, v21, v5
	v_mad_u64_u32 v[2:3], s[0:1], v2, s60, 0
	v_xor_b32_e32 v1, v1, v2
	v_mad_u64_u32 v[6:7], s[0:1], v1, s61, 0
	s_mov_b32 s0, 0x1fd5c5a3
	v_add_co_u32_e32 v37, vcc, s0, v0
	v_xor_b32_e32 v0, v37, v3
	v_xor_b32_e32 v0, v0, v10
	v_mad_u64_u32 v[0:1], s[0:1], v0, s61, 0
	s_mov_b32 s0, 0xf1bbcdc8
	v_add_co_u32_e32 v38, vcc, s0, v12
	s_load_dwordx2 s[46:47], s[4:5], 0xf4
	s_load_dwordx4 s[28:31], s[4:5], 0x138
	v_xor_b32_e32 v1, v38, v1
	v_xor_b32_e32 v1, v1, v8
	v_mad_u64_u32 v[8:9], s[0:1], v1, s60, 0
	v_add_u32_e32 v20, 0x96a522ad, v13
	v_xor_b32_e32 v1, v9, v4
	v_xor_b32_e32 v2, v20, v1
	v_mov_b32_e32 v1, v6
	s_waitcnt lgkmcnt(0)
	v_cvt_f32_f64_e32 v6, s[30:31]
	v_xor_b32_e32 v0, v7, v0
	v_sub_f32_e32 v7, 1.0, v6
	v_add_f32_e32 v4, -1.0, v7
	v_sub_f32_e32 v5, v4, v7
	v_add_f32_e32 v5, 1.0, v5
	v_sub_f32_e64 v4, -v6, v4
	v_mov_b32_e32 v3, v8
	v_add_f32_e32 v8, v4, v5
	v_frexp_mant_f32_e32 v9, v7
	s_mov_b32 s0, 0x3f2aaaab
	v_cvt_f64_f32_e32 v[4:5], v7
	v_frexp_exp_i32_f64_e32 v4, v[4:5]
	v_cmp_gt_f32_e32 vcc, s0, v9
	v_subbrev_co_u32_e32 v4, vcc, 0, v4, vcc
	v_sub_u32_e32 v5, 0, v4
	v_ldexp_f32 v7, v7, v5
	v_ldexp_f32 v5, v8, v5
	v_add_f32_e32 v8, -1.0, v7
	v_add_f32_e32 v11, 1.0, v7
	v_add_f32_e32 v9, 1.0, v8
	v_add_f32_e32 v16, -1.0, v11
	v_sub_f32_e32 v9, v7, v9
	v_sub_f32_e32 v7, v7, v16
	v_add_f32_e32 v9, v5, v9
	v_add_f32_e32 v5, v5, v7
	v_add_f32_e32 v7, v11, v5
	v_rcp_f32_e32 v16, v7
	v_add_f32_e32 v10, v8, v9
	v_sub_f32_e32 v8, v10, v8
	v_sub_f32_e32 v8, v9, v8
	;; [unrolled: 1-line block ×4, first 2 shown]
	v_mul_f32_e32 v9, v10, v16
	v_mul_f32_e32 v11, v7, v9
	v_fma_f32 v17, v9, v7, -v11
	v_fmac_f32_e32 v17, v9, v5
	v_add_f32_e32 v39, v11, v17
	v_sub_f32_e32 v40, v10, v39
	v_sub_f32_e32 v10, v10, v40
	;; [unrolled: 1-line block ×4, first 2 shown]
	v_add_f32_e32 v8, v8, v10
	v_sub_f32_e32 v10, v11, v17
	v_add_f32_e32 v8, v10, v8
	v_add_f32_e32 v10, v40, v8
	v_mul_f32_e32 v11, v16, v10
	v_mul_f32_e32 v17, v7, v11
	v_fma_f32 v7, v11, v7, -v17
	v_fmac_f32_e32 v7, v11, v5
	v_sub_f32_e32 v5, v40, v10
	v_add_f32_e32 v5, v8, v5
	v_add_f32_e32 v8, v17, v7
	v_sub_f32_e32 v39, v10, v8
	v_sub_f32_e32 v10, v10, v39
	;; [unrolled: 1-line block ×4, first 2 shown]
	v_add_f32_e32 v5, v5, v8
	v_sub_f32_e32 v7, v17, v7
	v_add_f32_e32 v5, v7, v5
	v_add_f32_e32 v7, v9, v11
	;; [unrolled: 1-line block ×3, first 2 shown]
	v_sub_f32_e32 v8, v7, v9
	v_mul_f32_e32 v5, v16, v5
	v_sub_f32_e32 v8, v11, v8
	v_add_f32_e32 v5, v8, v5
	v_cvt_f32_i32_e32 v4, v4
	v_add_f32_e32 v8, v7, v5
	v_mul_f32_e32 v9, v8, v8
	v_mov_b32_e32 v10, 0x3ecc95a3
	v_fmac_f32_e32 v10, 0x3e9b6dac, v9
	v_mov_b32_e32 v11, 0x3f2aaada
	v_fmac_f32_e32 v11, v9, v10
	s_mov_b32 s0, 0x3f317218
	v_mul_f32_e32 v10, 0x3f317218, v4
	v_fma_f32 v16, v4, s0, -v10
	v_fmac_f32_e32 v16, 0xb102e308, v4
	v_sub_f32_e32 v4, v8, v7
	v_sub_f32_e32 v4, v5, v4
	v_add_f32_e32 v5, v10, v16
	v_sub_f32_e32 v7, v5, v10
	v_ldexp_f32 v10, v8, 1
	v_mul_f32_e32 v8, v8, v9
	v_mul_f32_e32 v8, v8, v11
	v_add_f32_e32 v9, v10, v8
	v_sub_f32_e32 v10, v9, v10
	v_ldexp_f32 v4, v4, 1
	v_sub_f32_e32 v8, v8, v10
	v_add_f32_e32 v4, v4, v8
	v_add_f32_e32 v8, v9, v4
	v_sub_f32_e32 v9, v8, v9
	s_load_dwordx8 s[8:15], s[4:5], 0x30
	v_sub_f32_e32 v4, v4, v9
	v_add_f32_e32 v9, v5, v8
	v_sub_f32_e32 v10, v9, v5
	v_sub_f32_e32 v11, v9, v10
	;; [unrolled: 1-line block ×5, first 2 shown]
	s_add_u32 s34, s4, 48
	v_add_f32_e32 v5, v8, v5
	v_add_f32_e32 v8, v7, v4
	s_addc_u32 s35, s5, 0
	s_waitcnt lgkmcnt(0)
	s_add_i32 s2, s8, -1
	v_sub_f32_e32 v10, v8, v7
	s_cmp_gt_u32 s2, 1
	v_sub_f32_e32 v11, v8, v10
	s_cselect_b64 s[40:41], -1, 0
	s_cmp_lg_u32 s8, 0
	v_sub_f32_e32 v7, v7, v11
	v_sub_f32_e32 v4, v4, v10
	v_add_f32_e32 v5, v8, v5
	s_cselect_b64 s[42:43], -1, 0
	s_add_u32 s44, s4, 0xf4
	v_add_f32_e32 v4, v4, v7
	v_add_f32_e32 v7, v9, v5
	s_addc_u32 s45, s5, 0
	s_min_u32 s3, s2, 15
	v_sub_f32_e32 v8, v7, v9
	s_cmp_gt_u32 s8, 1
	v_sub_f32_e32 v5, v5, v8
	s_cselect_b64 s[48:49], -1, 0
	v_add_f32_e32 v4, v4, v5
	s_mov_b32 s0, 0xff800000
	s_add_i32 s3, s3, 1
	s_mov_b32 s8, s13
	v_add_f32_e32 v4, v7, v4
	v_cmp_eq_f32_e32 vcc, s0, v6
	s_lshl_b32 s13, s33, 1
	s_and_b32 s64, s3, 3
	v_cndmask_b32_e64 v4, v4, -v6, vcc
	v_mov_b32_e32 v5, 0x7fc00000
	v_cmp_nlt_f32_e32 vcc, 1.0, v6
	s_cmp_lg_u32 s2, 2
	v_cndmask_b32_e32 v4, v5, v4, vcc
	v_mov_b32_e32 v5, 0xff800000
	v_cmp_neq_f32_e32 vcc, 1.0, v6
	s_mov_b32 s0, 0x33800000
	s_cselect_b64 s[30:31], -1, 0
	s_and_b32 s65, s3, 28
	s_mov_b32 s59, 0
	v_add_u32_e32 v19, 0x8ff34781, v12
	v_cndmask_b32_e32 v4, v5, v4, vcc
	v_cmp_lt_f32_e64 s[0:1], |v6|, s0
	s_cmp_lg_u32 s64, 0
	v_xor_b32_e32 v0, v19, v0
	v_cndmask_b32_e64 v39, v4, -v6, s[0:1]
	s_mov_b32 s15, s59
	s_mul_i32 s62, s33, 3
	s_mov_b32 s63, s59
	s_mov_b64 s[50:51], 0
	s_cselect_b64 s[52:53], -1, 0
	s_mov_b32 s66, 0x800000
	s_mov_b32 s67, 0x3f317217
	;; [unrolled: 1-line block ×3, first 2 shown]
	v_mov_b32_e32 v40, 0x4f800000
	v_mov_b32_e32 v41, 0x41b17218
	;; [unrolled: 1-line block ×4, first 2 shown]
	s_branch .LBB3_9
.LBB3_7:                                ;   in Loop: Header=BB3_9 Depth=1
	v_cvt_f32_u32_e32 v1, v3
	v_mov_b32_e32 v2, 0x2f800000
	v_fmac_f32_e32 v2, 0x2f800000, v1
	v_cmp_gt_f32_e32 vcc, s66, v2
	v_cndmask_b32_e32 v1, 1.0, v40, vcc
	v_mul_f32_e32 v1, v2, v1
	v_log_f32_e32 v1, v1
	v_cndmask_b32_e32 v2, 0, v41, vcc
	v_mul_f32_e32 v3, 0x3f317217, v1
	v_fma_f32 v7, v1, s67, -v3
	v_fmac_f32_e32 v7, 0x3377d1cf, v1
	v_add_f32_e32 v3, v3, v7
	v_cmp_lt_f32_e64 vcc, |v1|, s68
	v_cndmask_b32_e32 v1, v1, v3, vcc
	v_sub_f32_e32 v1, v1, v2
	v_div_scale_f32 v2, s[0:1], v39, v39, v1
	v_rcp_f32_e32 v3, v2
	v_div_scale_f32 v7, vcc, v1, v39, v1
	v_fma_f32 v8, -v2, v3, 1.0
	v_fmac_f32_e32 v3, v8, v3
	v_mul_f32_e32 v8, v7, v3
	v_fma_f32 v9, -v2, v8, v7
	v_fmac_f32_e32 v8, v9, v3
	v_fma_f32 v2, -v2, v8, v7
	v_div_fmas_f32 v2, v2, v3, v8
	v_div_fixup_f32 v1, v2, v39, v1
	v_ceil_f32_e32 v1, v1
	v_cvt_i32_f32_e32 v1, v1
	global_store_byte v0, v1, s[28:29]
.LBB3_8:                                ;   in Loop: Header=BB3_9 Depth=1
	s_or_b64 exec, exec, s[36:37]
	v_add_co_u32_e32 v14, vcc, s58, v14
	v_addc_co_u32_e32 v15, vcc, 0, v15, vcc
	v_mov_b32_e32 v7, v16
	v_cmp_le_i64_e32 vcc, s[26:27], v[14:15]
	v_pk_mov_b32 v[0:1], v[4:5], v[4:5] op_sel:[0,1]
	s_or_b64 s[50:51], vcc, s[50:51]
	v_pk_mov_b32 v[2:3], v[6:7], v[6:7] op_sel:[0,1]
	s_barrier
	s_andn2_b64 exec, exec, s[50:51]
	s_cbranch_execz .LBB3_82
.LBB3_9:                                ; =>This Loop Header: Depth=1
                                        ;     Child Loop BB3_24 Depth 2
                                        ;     Child Loop BB3_30 Depth 2
	;; [unrolled: 1-line block ×8, first 2 shown]
	v_add_co_u32_e32 v29, vcc, 1, v29
	v_cndmask_b32_e64 v4, 0, 1, vcc
	v_addc_co_u32_e32 v30, vcc, 0, v30, vcc
	v_cmp_eq_u32_e32 vcc, 0, v30
	v_cndmask_b32_e32 v4, 0, v4, vcc
	v_add_u32_e32 v42, v4, v42
	v_cmp_eq_u32_e32 vcc, 0, v42
	v_cndmask_b32_e32 v4, 0, v4, vcc
	v_add_u32_e32 v43, v4, v43
	v_mad_u64_u32 v[4:5], s[0:1], v29, s60, 0
	v_mad_u64_u32 v[6:7], s[0:1], v42, s61, 0
	v_xor_b32_e32 v5, v5, v13
	v_xor_b32_e32 v7, v7, v12
	v_xor_b32_e32 v5, v43, v5
	v_xor_b32_e32 v7, v30, v7
	v_mad_u64_u32 v[10:11], s[0:1], v5, s61, 0
	v_mad_u64_u32 v[8:9], s[0:1], v7, s60, 0
	v_xor_b32_e32 v5, v28, v11
	v_xor_b32_e32 v5, v5, v6
	v_xor_b32_e32 v6, v31, v9
	v_xor_b32_e32 v6, v6, v4
	;; [unrolled: 6-line block ×10, first 2 shown]
	v_mov_b32_e32 v5, v10
	v_mov_b32_e32 v6, v11
	v_cmp_lt_i32_e32 vcc, 1, v18
	s_and_saveexec_b64 s[0:1], vcc
	s_xor_b64 s[0:1], exec, s[0:1]
	s_cbranch_execz .LBB3_15
; %bb.10:                               ;   in Loop: Header=BB3_9 Depth=1
	v_cmp_lt_i32_e32 vcc, 2, v18
	s_and_saveexec_b64 s[2:3], vcc
	s_xor_b64 s[2:3], exec, s[2:3]
; %bb.11:                               ;   in Loop: Header=BB3_9 Depth=1
	v_mov_b32_e32 v8, v3
	v_mov_b32_e32 v9, v4
	v_pk_mov_b32 v[0:1], v[8:9], v[8:9] op_sel:[0,1]
	v_pk_mov_b32 v[2:3], v[10:11], v[10:11] op_sel:[0,1]
                                        ; implicit-def: $vgpr10_vgpr11
; %bb.12:                               ;   in Loop: Header=BB3_9 Depth=1
	s_andn2_saveexec_b64 s[2:3], s[2:3]
; %bb.13:                               ;   in Loop: Header=BB3_9 Depth=1
	v_mov_b32_e32 v0, v2
	v_mov_b32_e32 v1, v3
	;; [unrolled: 1-line block ×4, first 2 shown]
; %bb.14:                               ;   in Loop: Header=BB3_9 Depth=1
	s_or_b64 exec, exec, s[2:3]
.LBB3_15:                               ;   in Loop: Header=BB3_9 Depth=1
	s_andn2_saveexec_b64 s[0:1], s[0:1]
	s_cbranch_execz .LBB3_19
; %bb.16:                               ;   in Loop: Header=BB3_9 Depth=1
	v_cmp_eq_u32_e32 vcc, 1, v18
	s_and_saveexec_b64 s[2:3], vcc
; %bb.17:                               ;   in Loop: Header=BB3_9 Depth=1
	v_mov_b32_e32 v0, v1
	v_mov_b32_e32 v1, v2
	v_mov_b32_e32 v2, v3
	v_mov_b32_e32 v3, v4
; %bb.18:                               ;   in Loop: Header=BB3_9 Depth=1
	s_or_b64 exec, exec, s[2:3]
.LBB3_19:                               ;   in Loop: Header=BB3_9 Depth=1
	s_or_b64 exec, exec, s[0:1]
	v_cndmask_b32_e64 v7, 0, 1, s[40:41]
	v_cmp_gt_i64_e32 vcc, s[24:25], v[14:15]
	v_cmp_ne_u32_e64 s[0:1], 1, v7
	s_and_saveexec_b64 s[2:3], vcc
	s_cbranch_execz .LBB3_35
; %bb.20:                               ;   in Loop: Header=BB3_9 Depth=1
	s_and_b64 vcc, exec, s[0:1]
	s_cbranch_vccnz .LBB3_26
; %bb.21:                               ;   in Loop: Header=BB3_9 Depth=1
	s_andn2_b64 vcc, exec, s[42:43]
	s_cbranch_vccnz .LBB3_27
; %bb.22:                               ;   in Loop: Header=BB3_9 Depth=1
	s_mov_b32 s6, 0
	s_andn2_b64 vcc, exec, s[30:31]
	v_mov_b32_e32 v8, 0
	s_cbranch_vccnz .LBB3_28
; %bb.23:                               ;   in Loop: Header=BB3_9 Depth=1
	s_mov_b32 s69, 0
	v_mov_b32_e32 v8, 0
	s_mov_b64 s[54:55], s[34:35]
	s_mov_b64 s[56:57], s[44:45]
	v_mov_b32_e32 v7, v14
.LBB3_24:                               ;   Parent Loop BB3_9 Depth=1
                                        ; =>  This Inner Loop Header: Depth=2
	s_load_dwordx8 s[16:23], s[54:55], 0x4
	s_load_dwordx4 s[4:7], s[54:55], 0x24
	s_load_dwordx4 s[36:39], s[56:57], 0x0
	s_add_u32 s54, s54, 48
	s_addc_u32 s55, s55, 0
	s_waitcnt lgkmcnt(0)
	v_mul_hi_u32 v9, s17, v7
	v_add_u32_e32 v9, v7, v9
	v_lshrrev_b32_e32 v9, s18, v9
	v_mul_lo_u32 v10, v9, s16
	v_mul_hi_u32 v11, s20, v9
	v_sub_u32_e32 v7, v7, v10
	v_add_u32_e32 v10, v9, v11
	v_lshrrev_b32_e32 v10, s21, v10
	v_mul_lo_u32 v11, v10, s19
	v_mul_hi_u32 v17, s23, v10
	v_sub_u32_e32 v9, v9, v11
	v_add_u32_e32 v11, v10, v17
	v_mul_lo_u32 v7, v7, s36
	v_mul_lo_u32 v9, v9, s37
	v_lshrrev_b32_e32 v11, s4, v11
	v_add3_u32 v8, v7, v8, v9
	v_mul_lo_u32 v7, v11, s22
	v_mul_hi_u32 v9, s6, v11
	v_sub_u32_e32 v7, v10, v7
	v_add_u32_e32 v9, v11, v9
	v_mul_lo_u32 v10, v7, s38
	v_lshrrev_b32_e32 v7, s7, v9
	s_add_i32 s69, s69, 4
	v_mul_lo_u32 v9, v7, s5
	s_add_u32 s56, s56, 16
	v_sub_u32_e32 v9, v11, v9
	s_addc_u32 s57, s57, 0
	v_mul_lo_u32 v9, v9, s39
	s_cmp_lg_u32 s65, s69
	v_add3_u32 v8, v10, v8, v9
	s_cbranch_scc1 .LBB3_24
; %bb.25:                               ;   in Loop: Header=BB3_9 Depth=1
	s_mov_b32 s6, s65
	s_andn2_b64 vcc, exec, s[52:53]
	s_cbranch_vccz .LBB3_29
	s_branch .LBB3_31
.LBB3_26:                               ;   in Loop: Header=BB3_9 Depth=1
                                        ; implicit-def: $vgpr8
	s_branch .LBB3_32
.LBB3_27:                               ;   in Loop: Header=BB3_9 Depth=1
	v_mov_b32_e32 v8, 0
	s_branch .LBB3_31
.LBB3_28:                               ;   in Loop: Header=BB3_9 Depth=1
	v_mov_b32_e32 v7, v14
	s_andn2_b64 vcc, exec, s[52:53]
	s_cbranch_vccnz .LBB3_31
.LBB3_29:                               ;   in Loop: Header=BB3_9 Depth=1
	s_lshl_b32 s4, s6, 2
	s_add_u32 s4, s44, s4
	s_addc_u32 s5, s45, 0
	s_mul_i32 s6, s6, 12
	s_add_u32 s6, s34, s6
	s_addc_u32 s7, s35, 0
	s_mov_b32 s16, s64
.LBB3_30:                               ;   Parent Loop BB3_9 Depth=1
                                        ; =>  This Inner Loop Header: Depth=2
	s_load_dwordx2 s[18:19], s[6:7], 0x4
	s_load_dword s17, s[6:7], 0xc
	s_load_dword s20, s[4:5], 0x0
	s_add_u32 s6, s6, 12
	s_addc_u32 s7, s7, 0
	s_waitcnt lgkmcnt(0)
	v_mul_hi_u32 v9, s19, v7
	v_add_u32_e32 v9, v7, v9
	v_lshrrev_b32_e32 v9, s17, v9
	s_add_u32 s4, s4, 4
	v_mul_lo_u32 v10, v9, s18
	s_addc_u32 s5, s5, 0
	s_add_i32 s16, s16, -1
	v_sub_u32_e32 v10, v7, v10
	s_cmp_lg_u32 s16, 0
	v_mov_b32_e32 v7, v9
	v_mad_u64_u32 v[8:9], s[18:19], v10, s20, v[8:9]
	s_cbranch_scc1 .LBB3_30
.LBB3_31:                               ;   in Loop: Header=BB3_9 Depth=1
	s_cbranch_execnz .LBB3_34
.LBB3_32:                               ;   in Loop: Header=BB3_9 Depth=1
	v_mul_hi_u32 v7, v14, s10
	v_add_u32_e32 v7, v7, v14
	v_lshrrev_b32_e32 v7, s11, v7
	v_mul_lo_u32 v8, v7, s9
	v_sub_u32_e32 v8, v14, v8
	s_andn2_b64 vcc, exec, s[48:49]
	v_mul_lo_u32 v8, v8, s46
	s_cbranch_vccnz .LBB3_34
; %bb.33:                               ;   in Loop: Header=BB3_9 Depth=1
	v_mul_hi_u32 v9, s8, v7
	v_add_u32_e32 v9, v7, v9
	v_lshrrev_b32_e32 v9, s14, v9
	v_mul_lo_u32 v9, v9, s12
	v_sub_u32_e32 v7, v7, v9
	v_mad_u64_u32 v[8:9], s[4:5], v7, s47, v[8:9]
.LBB3_34:                               ;   in Loop: Header=BB3_9 Depth=1
	v_cvt_f32_u32_e32 v0, v0
	v_mov_b32_e32 v7, 0x2f800000
	v_fmac_f32_e32 v7, 0x2f800000, v0
	v_cmp_gt_f32_e32 vcc, s66, v7
	v_cndmask_b32_e32 v0, 1.0, v40, vcc
	v_mul_f32_e32 v0, v7, v0
	v_log_f32_e32 v0, v0
	v_cndmask_b32_e32 v7, 0, v41, vcc
	v_mul_f32_e32 v9, 0x3f317217, v0
	v_fma_f32 v10, v0, s67, -v9
	v_fmac_f32_e32 v10, 0x3377d1cf, v0
	v_add_f32_e32 v9, v9, v10
	v_cmp_lt_f32_e64 vcc, |v0|, s68
	v_cndmask_b32_e32 v0, v0, v9, vcc
	v_sub_f32_e32 v0, v0, v7
	v_div_scale_f32 v7, s[4:5], v39, v39, v0
	v_rcp_f32_e32 v9, v7
	v_div_scale_f32 v10, vcc, v0, v39, v0
	v_fma_f32 v11, -v7, v9, 1.0
	v_fmac_f32_e32 v9, v11, v9
	v_mul_f32_e32 v11, v10, v9
	v_fma_f32 v17, -v7, v11, v10
	v_fmac_f32_e32 v11, v17, v9
	v_fma_f32 v7, -v7, v11, v10
	v_div_fmas_f32 v7, v7, v9, v11
	v_div_fixup_f32 v0, v7, v39, v0
	v_ceil_f32_e32 v0, v0
	v_cvt_i32_f32_e32 v0, v0
	global_store_byte v8, v0, s[28:29]
.LBB3_35:                               ;   in Loop: Header=BB3_9 Depth=1
	s_or_b64 exec, exec, s[2:3]
	v_mov_b32_e32 v0, s59
	v_add_co_u32_e32 v10, vcc, s33, v14
	v_addc_co_u32_e32 v11, vcc, v15, v0, vcc
	v_cmp_gt_i64_e32 vcc, s[24:25], v[10:11]
	s_and_saveexec_b64 s[2:3], vcc
	s_cbranch_execz .LBB3_51
; %bb.36:                               ;   in Loop: Header=BB3_9 Depth=1
	s_and_b64 vcc, exec, s[0:1]
	s_cbranch_vccnz .LBB3_42
; %bb.37:                               ;   in Loop: Header=BB3_9 Depth=1
	s_andn2_b64 vcc, exec, s[42:43]
	s_cbranch_vccnz .LBB3_43
; %bb.38:                               ;   in Loop: Header=BB3_9 Depth=1
	s_mov_b32 s6, 0
	s_andn2_b64 vcc, exec, s[30:31]
	v_mov_b32_e32 v8, 0
	s_cbranch_vccnz .LBB3_44
; %bb.39:                               ;   in Loop: Header=BB3_9 Depth=1
	s_mov_b32 s69, 0
	v_mov_b32_e32 v8, 0
	s_mov_b64 s[54:55], s[34:35]
	s_mov_b64 s[56:57], s[44:45]
	v_mov_b32_e32 v0, v10
.LBB3_40:                               ;   Parent Loop BB3_9 Depth=1
                                        ; =>  This Inner Loop Header: Depth=2
	s_load_dwordx8 s[16:23], s[54:55], 0x4
	s_load_dwordx4 s[4:7], s[54:55], 0x24
	s_load_dwordx4 s[36:39], s[56:57], 0x0
	s_add_u32 s54, s54, 48
	s_addc_u32 s55, s55, 0
	s_waitcnt lgkmcnt(0)
	v_mul_hi_u32 v7, s17, v0
	v_add_u32_e32 v7, v0, v7
	v_lshrrev_b32_e32 v7, s18, v7
	v_mul_lo_u32 v9, v7, s16
	v_mul_hi_u32 v11, s20, v7
	v_sub_u32_e32 v0, v0, v9
	v_add_u32_e32 v9, v7, v11
	v_lshrrev_b32_e32 v9, s21, v9
	v_mul_lo_u32 v11, v9, s19
	v_mul_hi_u32 v17, s23, v9
	v_sub_u32_e32 v7, v7, v11
	v_add_u32_e32 v11, v9, v17
	v_mul_lo_u32 v0, v0, s36
	v_mul_lo_u32 v7, v7, s37
	v_lshrrev_b32_e32 v11, s4, v11
	v_add3_u32 v7, v0, v8, v7
	v_mul_lo_u32 v0, v11, s22
	v_mul_hi_u32 v8, s6, v11
	v_sub_u32_e32 v0, v9, v0
	v_add_u32_e32 v8, v11, v8
	v_mul_lo_u32 v9, v0, s38
	v_lshrrev_b32_e32 v0, s7, v8
	s_add_i32 s69, s69, 4
	v_mul_lo_u32 v8, v0, s5
	s_add_u32 s56, s56, 16
	v_sub_u32_e32 v8, v11, v8
	s_addc_u32 s57, s57, 0
	v_mul_lo_u32 v8, v8, s39
	s_cmp_eq_u32 s65, s69
	v_add3_u32 v8, v9, v7, v8
	s_cbranch_scc0 .LBB3_40
; %bb.41:                               ;   in Loop: Header=BB3_9 Depth=1
	s_mov_b32 s6, s65
	s_andn2_b64 vcc, exec, s[52:53]
	s_cbranch_vccz .LBB3_45
	s_branch .LBB3_47
.LBB3_42:                               ;   in Loop: Header=BB3_9 Depth=1
                                        ; implicit-def: $vgpr8
	s_branch .LBB3_48
.LBB3_43:                               ;   in Loop: Header=BB3_9 Depth=1
	v_mov_b32_e32 v8, 0
	s_branch .LBB3_47
.LBB3_44:                               ;   in Loop: Header=BB3_9 Depth=1
	v_mov_b32_e32 v0, v10
	s_andn2_b64 vcc, exec, s[52:53]
	s_cbranch_vccnz .LBB3_47
.LBB3_45:                               ;   in Loop: Header=BB3_9 Depth=1
	s_lshl_b32 s4, s6, 2
	s_add_u32 s4, s44, s4
	s_addc_u32 s5, s45, 0
	s_mul_i32 s6, s6, 12
	s_add_u32 s6, s34, s6
	s_addc_u32 s7, s35, 0
	s_mov_b32 s16, s64
.LBB3_46:                               ;   Parent Loop BB3_9 Depth=1
                                        ; =>  This Inner Loop Header: Depth=2
	s_load_dwordx2 s[18:19], s[6:7], 0x4
	s_load_dword s17, s[6:7], 0xc
	s_load_dword s20, s[4:5], 0x0
	s_add_u32 s6, s6, 12
	s_addc_u32 s7, s7, 0
	s_waitcnt lgkmcnt(0)
	v_mul_hi_u32 v7, s19, v0
	v_add_u32_e32 v7, v0, v7
	v_lshrrev_b32_e32 v7, s17, v7
	s_add_u32 s4, s4, 4
	v_mul_lo_u32 v9, v7, s18
	s_addc_u32 s5, s5, 0
	s_add_i32 s16, s16, -1
	v_sub_u32_e32 v9, v0, v9
	s_cmp_lg_u32 s16, 0
	v_mov_b32_e32 v0, v7
	v_mad_u64_u32 v[8:9], s[18:19], v9, s20, v[8:9]
	s_cbranch_scc1 .LBB3_46
.LBB3_47:                               ;   in Loop: Header=BB3_9 Depth=1
	s_cbranch_execnz .LBB3_50
.LBB3_48:                               ;   in Loop: Header=BB3_9 Depth=1
	v_mul_hi_u32 v0, v10, s10
	v_add_u32_e32 v0, v0, v10
	v_lshrrev_b32_e32 v0, s11, v0
	v_mul_lo_u32 v7, v0, s9
	v_sub_u32_e32 v7, v10, v7
	s_andn2_b64 vcc, exec, s[48:49]
	v_mul_lo_u32 v8, v7, s46
	s_cbranch_vccnz .LBB3_50
; %bb.49:                               ;   in Loop: Header=BB3_9 Depth=1
	v_mul_hi_u32 v7, s8, v0
	v_add_u32_e32 v7, v0, v7
	v_lshrrev_b32_e32 v7, s14, v7
	v_mul_lo_u32 v7, v7, s12
	v_sub_u32_e32 v0, v0, v7
	v_mad_u64_u32 v[8:9], s[4:5], v0, s47, v[8:9]
.LBB3_50:                               ;   in Loop: Header=BB3_9 Depth=1
	v_cvt_f32_u32_e32 v0, v1
	v_mov_b32_e32 v1, 0x2f800000
	v_fmac_f32_e32 v1, 0x2f800000, v0
	v_cmp_gt_f32_e32 vcc, s66, v1
	v_cndmask_b32_e32 v0, 1.0, v40, vcc
	v_mul_f32_e32 v0, v1, v0
	v_log_f32_e32 v0, v0
	v_cndmask_b32_e32 v1, 0, v41, vcc
	v_mul_f32_e32 v7, 0x3f317217, v0
	v_fma_f32 v9, v0, s67, -v7
	v_fmac_f32_e32 v9, 0x3377d1cf, v0
	v_add_f32_e32 v7, v7, v9
	v_cmp_lt_f32_e64 vcc, |v0|, s68
	v_cndmask_b32_e32 v0, v0, v7, vcc
	v_sub_f32_e32 v0, v0, v1
	v_div_scale_f32 v1, s[4:5], v39, v39, v0
	v_rcp_f32_e32 v7, v1
	v_div_scale_f32 v9, vcc, v0, v39, v0
	v_fma_f32 v10, -v1, v7, 1.0
	v_fmac_f32_e32 v7, v10, v7
	v_mul_f32_e32 v10, v9, v7
	v_fma_f32 v11, -v1, v10, v9
	v_fmac_f32_e32 v10, v11, v7
	v_fma_f32 v1, -v1, v10, v9
	v_div_fmas_f32 v1, v1, v7, v10
	v_div_fixup_f32 v0, v1, v39, v0
	v_ceil_f32_e32 v0, v0
	v_cvt_i32_f32_e32 v0, v0
	global_store_byte v8, v0, s[28:29]
.LBB3_51:                               ;   in Loop: Header=BB3_9 Depth=1
	s_or_b64 exec, exec, s[2:3]
	v_mov_b32_e32 v0, s15
	v_add_co_u32_e32 v8, vcc, s13, v14
	v_addc_co_u32_e32 v9, vcc, v15, v0, vcc
	v_cmp_gt_i64_e32 vcc, s[24:25], v[8:9]
	s_and_saveexec_b64 s[2:3], vcc
	s_cbranch_execz .LBB3_67
; %bb.52:                               ;   in Loop: Header=BB3_9 Depth=1
	s_and_b64 vcc, exec, s[0:1]
	s_cbranch_vccnz .LBB3_58
; %bb.53:                               ;   in Loop: Header=BB3_9 Depth=1
	s_andn2_b64 vcc, exec, s[42:43]
	s_cbranch_vccnz .LBB3_59
; %bb.54:                               ;   in Loop: Header=BB3_9 Depth=1
	s_mov_b32 s6, 0
	s_andn2_b64 vcc, exec, s[30:31]
	v_mov_b32_e32 v0, 0
	s_cbranch_vccnz .LBB3_60
; %bb.55:                               ;   in Loop: Header=BB3_9 Depth=1
	s_mov_b32 s69, 0
	v_mov_b32_e32 v0, 0
	s_mov_b64 s[54:55], s[34:35]
	s_mov_b64 s[56:57], s[44:45]
	v_mov_b32_e32 v7, v8
.LBB3_56:                               ;   Parent Loop BB3_9 Depth=1
                                        ; =>  This Inner Loop Header: Depth=2
	s_load_dwordx8 s[16:23], s[54:55], 0x4
	s_load_dwordx4 s[4:7], s[54:55], 0x24
	s_load_dwordx4 s[36:39], s[56:57], 0x0
	s_add_u32 s54, s54, 48
	s_addc_u32 s55, s55, 0
	s_waitcnt lgkmcnt(0)
	v_mul_hi_u32 v1, s17, v7
	v_add_u32_e32 v1, v7, v1
	v_lshrrev_b32_e32 v1, s18, v1
	v_mul_lo_u32 v9, v1, s16
	v_mul_hi_u32 v10, s20, v1
	v_sub_u32_e32 v7, v7, v9
	v_add_u32_e32 v9, v1, v10
	v_lshrrev_b32_e32 v9, s21, v9
	v_mul_lo_u32 v10, v9, s19
	v_mul_hi_u32 v11, s23, v9
	v_sub_u32_e32 v1, v1, v10
	v_add_u32_e32 v10, v9, v11
	v_mul_lo_u32 v7, v7, s36
	v_mul_lo_u32 v1, v1, s37
	v_lshrrev_b32_e32 v10, s4, v10
	v_add3_u32 v0, v7, v0, v1
	v_mul_hi_u32 v7, s6, v10
	v_add_u32_e32 v7, v10, v7
	v_mul_lo_u32 v1, v10, s22
	v_lshrrev_b32_e32 v7, s7, v7
	s_add_i32 s69, s69, 4
	v_sub_u32_e32 v1, v9, v1
	v_mul_lo_u32 v9, v7, s5
	s_add_u32 s56, s56, 16
	v_sub_u32_e32 v9, v10, v9
	s_addc_u32 s57, s57, 0
	v_mul_lo_u32 v1, v1, s38
	v_mul_lo_u32 v9, v9, s39
	s_cmp_eq_u32 s65, s69
	v_add3_u32 v0, v1, v0, v9
	s_cbranch_scc0 .LBB3_56
; %bb.57:                               ;   in Loop: Header=BB3_9 Depth=1
	s_mov_b32 s6, s65
	s_andn2_b64 vcc, exec, s[52:53]
	s_cbranch_vccz .LBB3_61
	s_branch .LBB3_63
.LBB3_58:                               ;   in Loop: Header=BB3_9 Depth=1
                                        ; implicit-def: $vgpr0
	s_branch .LBB3_64
.LBB3_59:                               ;   in Loop: Header=BB3_9 Depth=1
	v_mov_b32_e32 v0, 0
	s_branch .LBB3_63
.LBB3_60:                               ;   in Loop: Header=BB3_9 Depth=1
	v_mov_b32_e32 v7, v8
	s_andn2_b64 vcc, exec, s[52:53]
	s_cbranch_vccnz .LBB3_63
.LBB3_61:                               ;   in Loop: Header=BB3_9 Depth=1
	s_lshl_b32 s4, s6, 2
	s_add_u32 s4, s44, s4
	s_addc_u32 s5, s45, 0
	s_mul_i32 s6, s6, 12
	s_add_u32 s6, s34, s6
	s_addc_u32 s7, s35, 0
	s_mov_b32 s16, s64
.LBB3_62:                               ;   Parent Loop BB3_9 Depth=1
                                        ; =>  This Inner Loop Header: Depth=2
	s_load_dwordx2 s[18:19], s[6:7], 0x4
	s_load_dword s17, s[6:7], 0xc
	s_load_dword s20, s[4:5], 0x0
	s_add_u32 s6, s6, 12
	s_addc_u32 s7, s7, 0
	s_waitcnt lgkmcnt(0)
	v_mul_hi_u32 v1, s19, v7
	v_add_u32_e32 v1, v7, v1
	v_lshrrev_b32_e32 v1, s17, v1
	s_add_u32 s4, s4, 4
	v_mul_lo_u32 v9, v1, s18
	s_addc_u32 s5, s5, 0
	s_add_i32 s16, s16, -1
	v_sub_u32_e32 v9, v7, v9
	s_cmp_lg_u32 s16, 0
	v_mov_b32_e32 v7, v1
	v_mad_u64_u32 v[0:1], s[18:19], v9, s20, v[0:1]
	s_cbranch_scc1 .LBB3_62
.LBB3_63:                               ;   in Loop: Header=BB3_9 Depth=1
	s_cbranch_execnz .LBB3_66
.LBB3_64:                               ;   in Loop: Header=BB3_9 Depth=1
	v_mul_hi_u32 v0, v8, s10
	v_add_u32_e32 v0, v0, v8
	v_lshrrev_b32_e32 v1, s11, v0
	v_mul_lo_u32 v0, v1, s9
	v_sub_u32_e32 v0, v8, v0
	s_andn2_b64 vcc, exec, s[48:49]
	v_mul_lo_u32 v0, v0, s46
	s_cbranch_vccnz .LBB3_66
; %bb.65:                               ;   in Loop: Header=BB3_9 Depth=1
	v_mul_hi_u32 v7, s8, v1
	v_add_u32_e32 v7, v1, v7
	v_lshrrev_b32_e32 v7, s14, v7
	v_mul_lo_u32 v7, v7, s12
	v_sub_u32_e32 v1, v1, v7
	v_mad_u64_u32 v[0:1], s[4:5], v1, s47, v[0:1]
.LBB3_66:                               ;   in Loop: Header=BB3_9 Depth=1
	v_cvt_f32_u32_e32 v1, v2
	v_mov_b32_e32 v2, 0x2f800000
	v_fmac_f32_e32 v2, 0x2f800000, v1
	v_cmp_gt_f32_e32 vcc, s66, v2
	v_cndmask_b32_e32 v1, 1.0, v40, vcc
	v_mul_f32_e32 v1, v2, v1
	v_log_f32_e32 v1, v1
	v_cndmask_b32_e32 v2, 0, v41, vcc
	v_mul_f32_e32 v7, 0x3f317217, v1
	v_fma_f32 v8, v1, s67, -v7
	v_fmac_f32_e32 v8, 0x3377d1cf, v1
	v_add_f32_e32 v7, v7, v8
	v_cmp_lt_f32_e64 vcc, |v1|, s68
	v_cndmask_b32_e32 v1, v1, v7, vcc
	v_sub_f32_e32 v1, v1, v2
	v_div_scale_f32 v2, s[4:5], v39, v39, v1
	v_rcp_f32_e32 v7, v2
	v_div_scale_f32 v8, vcc, v1, v39, v1
	v_fma_f32 v9, -v2, v7, 1.0
	v_fmac_f32_e32 v7, v9, v7
	v_mul_f32_e32 v9, v8, v7
	v_fma_f32 v10, -v2, v9, v8
	v_fmac_f32_e32 v9, v10, v7
	v_fma_f32 v2, -v2, v9, v8
	v_div_fmas_f32 v2, v2, v7, v9
	v_div_fixup_f32 v1, v2, v39, v1
	v_ceil_f32_e32 v1, v1
	v_cvt_i32_f32_e32 v1, v1
	global_store_byte v0, v1, s[28:29]
.LBB3_67:                               ;   in Loop: Header=BB3_9 Depth=1
	s_or_b64 exec, exec, s[2:3]
	v_mov_b32_e32 v0, s63
	v_add_co_u32_e32 v8, vcc, s62, v14
	v_addc_co_u32_e32 v9, vcc, v15, v0, vcc
	v_cmp_gt_i64_e32 vcc, s[24:25], v[8:9]
	s_and_saveexec_b64 s[36:37], vcc
	s_cbranch_execz .LBB3_8
; %bb.68:                               ;   in Loop: Header=BB3_9 Depth=1
	s_and_b64 vcc, exec, s[0:1]
	s_cbranch_vccnz .LBB3_74
; %bb.69:                               ;   in Loop: Header=BB3_9 Depth=1
	s_andn2_b64 vcc, exec, s[42:43]
	s_cbranch_vccnz .LBB3_75
; %bb.70:                               ;   in Loop: Header=BB3_9 Depth=1
	s_mov_b32 s2, 0
	s_andn2_b64 vcc, exec, s[30:31]
	v_mov_b32_e32 v0, 0
	s_cbranch_vccnz .LBB3_76
; %bb.71:                               ;   in Loop: Header=BB3_9 Depth=1
	s_mov_b32 s56, 0
	v_mov_b32_e32 v0, 0
	s_mov_b64 s[38:39], s[34:35]
	s_mov_b64 s[54:55], s[44:45]
	v_mov_b32_e32 v2, v8
.LBB3_72:                               ;   Parent Loop BB3_9 Depth=1
                                        ; =>  This Inner Loop Header: Depth=2
	s_load_dwordx8 s[0:7], s[38:39], 0x4
	s_load_dwordx4 s[16:19], s[38:39], 0x24
	s_load_dwordx4 s[20:23], s[54:55], 0x0
	s_add_u32 s38, s38, 48
	s_addc_u32 s39, s39, 0
	s_waitcnt lgkmcnt(0)
	v_mul_hi_u32 v1, s1, v2
	v_add_u32_e32 v1, v2, v1
	v_lshrrev_b32_e32 v1, s2, v1
	v_mul_lo_u32 v7, v1, s0
	v_mul_hi_u32 v9, s4, v1
	v_sub_u32_e32 v2, v2, v7
	v_add_u32_e32 v7, v1, v9
	v_lshrrev_b32_e32 v7, s5, v7
	v_mul_lo_u32 v9, v7, s3
	v_mul_hi_u32 v10, s7, v7
	v_sub_u32_e32 v1, v1, v9
	v_add_u32_e32 v9, v7, v10
	v_mul_lo_u32 v2, v2, s20
	v_mul_lo_u32 v1, v1, s21
	v_lshrrev_b32_e32 v9, s16, v9
	v_add3_u32 v0, v2, v0, v1
	v_mul_hi_u32 v2, s18, v9
	v_add_u32_e32 v2, v9, v2
	v_mul_lo_u32 v1, v9, s6
	v_lshrrev_b32_e32 v2, s19, v2
	s_add_i32 s56, s56, 4
	v_sub_u32_e32 v1, v7, v1
	v_mul_lo_u32 v7, v2, s17
	s_add_u32 s54, s54, 16
	v_sub_u32_e32 v7, v9, v7
	s_addc_u32 s55, s55, 0
	v_mul_lo_u32 v1, v1, s22
	v_mul_lo_u32 v7, v7, s23
	s_cmp_eq_u32 s65, s56
	v_add3_u32 v0, v1, v0, v7
	s_cbranch_scc0 .LBB3_72
; %bb.73:                               ;   in Loop: Header=BB3_9 Depth=1
	s_mov_b32 s2, s65
	s_andn2_b64 vcc, exec, s[52:53]
	s_cbranch_vccz .LBB3_77
	s_branch .LBB3_79
.LBB3_74:                               ;   in Loop: Header=BB3_9 Depth=1
                                        ; implicit-def: $vgpr0
	s_branch .LBB3_80
.LBB3_75:                               ;   in Loop: Header=BB3_9 Depth=1
	v_mov_b32_e32 v0, 0
	s_branch .LBB3_79
.LBB3_76:                               ;   in Loop: Header=BB3_9 Depth=1
	v_mov_b32_e32 v2, v8
	s_andn2_b64 vcc, exec, s[52:53]
	s_cbranch_vccnz .LBB3_79
.LBB3_77:                               ;   in Loop: Header=BB3_9 Depth=1
	s_lshl_b32 s0, s2, 2
	s_add_u32 s0, s44, s0
	s_addc_u32 s1, s45, 0
	s_mul_i32 s2, s2, 12
	s_add_u32 s2, s34, s2
	s_addc_u32 s3, s35, 0
	s_mov_b32 s4, s64
.LBB3_78:                               ;   Parent Loop BB3_9 Depth=1
                                        ; =>  This Inner Loop Header: Depth=2
	s_load_dwordx2 s[6:7], s[2:3], 0x4
	s_load_dword s5, s[2:3], 0xc
	s_load_dword s16, s[0:1], 0x0
	s_add_u32 s2, s2, 12
	s_addc_u32 s3, s3, 0
	s_waitcnt lgkmcnt(0)
	v_mul_hi_u32 v1, s7, v2
	v_add_u32_e32 v1, v2, v1
	v_lshrrev_b32_e32 v1, s5, v1
	s_add_u32 s0, s0, 4
	v_mul_lo_u32 v7, v1, s6
	s_addc_u32 s1, s1, 0
	s_add_i32 s4, s4, -1
	v_sub_u32_e32 v7, v2, v7
	s_cmp_lg_u32 s4, 0
	v_mov_b32_e32 v2, v1
	v_mad_u64_u32 v[0:1], s[6:7], v7, s16, v[0:1]
	s_cbranch_scc1 .LBB3_78
.LBB3_79:                               ;   in Loop: Header=BB3_9 Depth=1
	s_cbranch_execnz .LBB3_7
.LBB3_80:                               ;   in Loop: Header=BB3_9 Depth=1
	v_mul_hi_u32 v0, v8, s10
	v_add_u32_e32 v0, v0, v8
	v_lshrrev_b32_e32 v1, s11, v0
	v_mul_lo_u32 v0, v1, s9
	v_sub_u32_e32 v0, v8, v0
	s_andn2_b64 vcc, exec, s[48:49]
	v_mul_lo_u32 v0, v0, s46
	s_cbranch_vccnz .LBB3_7
; %bb.81:                               ;   in Loop: Header=BB3_9 Depth=1
	v_mul_hi_u32 v2, s8, v1
	v_add_u32_e32 v2, v1, v2
	v_lshrrev_b32_e32 v2, s14, v2
	v_mul_lo_u32 v2, v2, s12
	v_sub_u32_e32 v1, v1, v2
	v_mad_u64_u32 v[0:1], s[0:1], v1, s47, v[0:1]
	s_branch .LBB3_7
.LBB3_82:
	s_endpgm
.LBB3_83:
                                        ; implicit-def: $sgpr2_sgpr3
	s_andn2_b64 vcc, exec, s[0:1]
	s_cbranch_vccz .LBB3_4
	s_branch .LBB3_5
	.section	.rodata,"a",@progbits
	.p2align	6, 0x0
	.amdhsa_kernel _ZN2at6native12_GLOBAL__N_143distribution_elementwise_grid_stride_kernelIfLi4EZNS0_9templates4cuda21uniform_and_transformIhfPNS_17CUDAGeneratorImplEZZZNS4_16geometric_kernelIS7_EEvRNS_18TensorIteratorBaseEdT_ENKUlvE_clEvENKUlvE_clEvEUlfE_EEvSA_T1_T2_EUlP25hiprandStatePhilox4_32_10E0_ZNS1_27distribution_nullary_kernelIhf15HIP_vector_typeIfLj4EES7_SJ_SE_EEvSA_SG_RKT3_T4_EUlifE0_EEvlNS_15PhiloxCudaStateESF_SG_
		.amdhsa_group_segment_fixed_size 0
		.amdhsa_private_segment_fixed_size 0
		.amdhsa_kernarg_size 584
		.amdhsa_user_sgpr_count 6
		.amdhsa_user_sgpr_private_segment_buffer 1
		.amdhsa_user_sgpr_dispatch_ptr 0
		.amdhsa_user_sgpr_queue_ptr 0
		.amdhsa_user_sgpr_kernarg_segment_ptr 1
		.amdhsa_user_sgpr_dispatch_id 0
		.amdhsa_user_sgpr_flat_scratch_init 0
		.amdhsa_user_sgpr_kernarg_preload_length 0
		.amdhsa_user_sgpr_kernarg_preload_offset 0
		.amdhsa_user_sgpr_private_segment_size 0
		.amdhsa_uses_dynamic_stack 0
		.amdhsa_system_sgpr_private_segment_wavefront_offset 0
		.amdhsa_system_sgpr_workgroup_id_x 1
		.amdhsa_system_sgpr_workgroup_id_y 0
		.amdhsa_system_sgpr_workgroup_id_z 0
		.amdhsa_system_sgpr_workgroup_info 0
		.amdhsa_system_vgpr_workitem_id 0
		.amdhsa_next_free_vgpr 44
		.amdhsa_next_free_sgpr 70
		.amdhsa_accum_offset 44
		.amdhsa_reserve_vcc 1
		.amdhsa_reserve_flat_scratch 0
		.amdhsa_float_round_mode_32 0
		.amdhsa_float_round_mode_16_64 0
		.amdhsa_float_denorm_mode_32 3
		.amdhsa_float_denorm_mode_16_64 3
		.amdhsa_dx10_clamp 1
		.amdhsa_ieee_mode 1
		.amdhsa_fp16_overflow 0
		.amdhsa_tg_split 0
		.amdhsa_exception_fp_ieee_invalid_op 0
		.amdhsa_exception_fp_denorm_src 0
		.amdhsa_exception_fp_ieee_div_zero 0
		.amdhsa_exception_fp_ieee_overflow 0
		.amdhsa_exception_fp_ieee_underflow 0
		.amdhsa_exception_fp_ieee_inexact 0
		.amdhsa_exception_int_div_zero 0
	.end_amdhsa_kernel
	.section	.text._ZN2at6native12_GLOBAL__N_143distribution_elementwise_grid_stride_kernelIfLi4EZNS0_9templates4cuda21uniform_and_transformIhfPNS_17CUDAGeneratorImplEZZZNS4_16geometric_kernelIS7_EEvRNS_18TensorIteratorBaseEdT_ENKUlvE_clEvENKUlvE_clEvEUlfE_EEvSA_T1_T2_EUlP25hiprandStatePhilox4_32_10E0_ZNS1_27distribution_nullary_kernelIhf15HIP_vector_typeIfLj4EES7_SJ_SE_EEvSA_SG_RKT3_T4_EUlifE0_EEvlNS_15PhiloxCudaStateESF_SG_,"axG",@progbits,_ZN2at6native12_GLOBAL__N_143distribution_elementwise_grid_stride_kernelIfLi4EZNS0_9templates4cuda21uniform_and_transformIhfPNS_17CUDAGeneratorImplEZZZNS4_16geometric_kernelIS7_EEvRNS_18TensorIteratorBaseEdT_ENKUlvE_clEvENKUlvE_clEvEUlfE_EEvSA_T1_T2_EUlP25hiprandStatePhilox4_32_10E0_ZNS1_27distribution_nullary_kernelIhf15HIP_vector_typeIfLj4EES7_SJ_SE_EEvSA_SG_RKT3_T4_EUlifE0_EEvlNS_15PhiloxCudaStateESF_SG_,comdat
.Lfunc_end3:
	.size	_ZN2at6native12_GLOBAL__N_143distribution_elementwise_grid_stride_kernelIfLi4EZNS0_9templates4cuda21uniform_and_transformIhfPNS_17CUDAGeneratorImplEZZZNS4_16geometric_kernelIS7_EEvRNS_18TensorIteratorBaseEdT_ENKUlvE_clEvENKUlvE_clEvEUlfE_EEvSA_T1_T2_EUlP25hiprandStatePhilox4_32_10E0_ZNS1_27distribution_nullary_kernelIhf15HIP_vector_typeIfLj4EES7_SJ_SE_EEvSA_SG_RKT3_T4_EUlifE0_EEvlNS_15PhiloxCudaStateESF_SG_, .Lfunc_end3-_ZN2at6native12_GLOBAL__N_143distribution_elementwise_grid_stride_kernelIfLi4EZNS0_9templates4cuda21uniform_and_transformIhfPNS_17CUDAGeneratorImplEZZZNS4_16geometric_kernelIS7_EEvRNS_18TensorIteratorBaseEdT_ENKUlvE_clEvENKUlvE_clEvEUlfE_EEvSA_T1_T2_EUlP25hiprandStatePhilox4_32_10E0_ZNS1_27distribution_nullary_kernelIhf15HIP_vector_typeIfLj4EES7_SJ_SE_EEvSA_SG_RKT3_T4_EUlifE0_EEvlNS_15PhiloxCudaStateESF_SG_
                                        ; -- End function
	.section	.AMDGPU.csdata,"",@progbits
; Kernel info:
; codeLenInByte = 5568
; NumSgprs: 74
; NumVgprs: 44
; NumAgprs: 0
; TotalNumVgprs: 44
; ScratchSize: 0
; MemoryBound: 0
; FloatMode: 240
; IeeeMode: 1
; LDSByteSize: 0 bytes/workgroup (compile time only)
; SGPRBlocks: 9
; VGPRBlocks: 5
; NumSGPRsForWavesPerEU: 74
; NumVGPRsForWavesPerEU: 44
; AccumOffset: 44
; Occupancy: 8
; WaveLimiterHint : 1
; COMPUTE_PGM_RSRC2:SCRATCH_EN: 0
; COMPUTE_PGM_RSRC2:USER_SGPR: 6
; COMPUTE_PGM_RSRC2:TRAP_HANDLER: 0
; COMPUTE_PGM_RSRC2:TGID_X_EN: 1
; COMPUTE_PGM_RSRC2:TGID_Y_EN: 0
; COMPUTE_PGM_RSRC2:TGID_Z_EN: 0
; COMPUTE_PGM_RSRC2:TIDIG_COMP_CNT: 0
; COMPUTE_PGM_RSRC3_GFX90A:ACCUM_OFFSET: 10
; COMPUTE_PGM_RSRC3_GFX90A:TG_SPLIT: 0
	.section	.text._ZN2at6native12_GLOBAL__N_143distribution_elementwise_grid_stride_kernelIfLi4EZNS0_9templates4cuda21uniform_and_transformIafPNS_17CUDAGeneratorImplEZZZNS4_16geometric_kernelIS7_EEvRNS_18TensorIteratorBaseEdT_ENKUlvE_clEvENKUlvE0_clEvEUlfE_EEvSA_T1_T2_EUlP25hiprandStatePhilox4_32_10E_ZNS1_27distribution_nullary_kernelIaf15HIP_vector_typeIdLj2EES7_SJ_SE_EEvSA_SG_RKT3_T4_EUlifE_EEvlNS_15PhiloxCudaStateESF_SG_,"axG",@progbits,_ZN2at6native12_GLOBAL__N_143distribution_elementwise_grid_stride_kernelIfLi4EZNS0_9templates4cuda21uniform_and_transformIafPNS_17CUDAGeneratorImplEZZZNS4_16geometric_kernelIS7_EEvRNS_18TensorIteratorBaseEdT_ENKUlvE_clEvENKUlvE0_clEvEUlfE_EEvSA_T1_T2_EUlP25hiprandStatePhilox4_32_10E_ZNS1_27distribution_nullary_kernelIaf15HIP_vector_typeIdLj2EES7_SJ_SE_EEvSA_SG_RKT3_T4_EUlifE_EEvlNS_15PhiloxCudaStateESF_SG_,comdat
	.globl	_ZN2at6native12_GLOBAL__N_143distribution_elementwise_grid_stride_kernelIfLi4EZNS0_9templates4cuda21uniform_and_transformIafPNS_17CUDAGeneratorImplEZZZNS4_16geometric_kernelIS7_EEvRNS_18TensorIteratorBaseEdT_ENKUlvE_clEvENKUlvE0_clEvEUlfE_EEvSA_T1_T2_EUlP25hiprandStatePhilox4_32_10E_ZNS1_27distribution_nullary_kernelIaf15HIP_vector_typeIdLj2EES7_SJ_SE_EEvSA_SG_RKT3_T4_EUlifE_EEvlNS_15PhiloxCudaStateESF_SG_ ; -- Begin function _ZN2at6native12_GLOBAL__N_143distribution_elementwise_grid_stride_kernelIfLi4EZNS0_9templates4cuda21uniform_and_transformIafPNS_17CUDAGeneratorImplEZZZNS4_16geometric_kernelIS7_EEvRNS_18TensorIteratorBaseEdT_ENKUlvE_clEvENKUlvE0_clEvEUlfE_EEvSA_T1_T2_EUlP25hiprandStatePhilox4_32_10E_ZNS1_27distribution_nullary_kernelIaf15HIP_vector_typeIdLj2EES7_SJ_SE_EEvSA_SG_RKT3_T4_EUlifE_EEvlNS_15PhiloxCudaStateESF_SG_
	.p2align	8
	.type	_ZN2at6native12_GLOBAL__N_143distribution_elementwise_grid_stride_kernelIfLi4EZNS0_9templates4cuda21uniform_and_transformIafPNS_17CUDAGeneratorImplEZZZNS4_16geometric_kernelIS7_EEvRNS_18TensorIteratorBaseEdT_ENKUlvE_clEvENKUlvE0_clEvEUlfE_EEvSA_T1_T2_EUlP25hiprandStatePhilox4_32_10E_ZNS1_27distribution_nullary_kernelIaf15HIP_vector_typeIdLj2EES7_SJ_SE_EEvSA_SG_RKT3_T4_EUlifE_EEvlNS_15PhiloxCudaStateESF_SG_,@function
_ZN2at6native12_GLOBAL__N_143distribution_elementwise_grid_stride_kernelIfLi4EZNS0_9templates4cuda21uniform_and_transformIafPNS_17CUDAGeneratorImplEZZZNS4_16geometric_kernelIS7_EEvRNS_18TensorIteratorBaseEdT_ENKUlvE_clEvENKUlvE0_clEvEUlfE_EEvSA_T1_T2_EUlP25hiprandStatePhilox4_32_10E_ZNS1_27distribution_nullary_kernelIaf15HIP_vector_typeIdLj2EES7_SJ_SE_EEvSA_SG_RKT3_T4_EUlifE_EEvlNS_15PhiloxCudaStateESF_SG_: ; @_ZN2at6native12_GLOBAL__N_143distribution_elementwise_grid_stride_kernelIfLi4EZNS0_9templates4cuda21uniform_and_transformIafPNS_17CUDAGeneratorImplEZZZNS4_16geometric_kernelIS7_EEvRNS_18TensorIteratorBaseEdT_ENKUlvE_clEvENKUlvE0_clEvEUlfE_EEvSA_T1_T2_EUlP25hiprandStatePhilox4_32_10E_ZNS1_27distribution_nullary_kernelIaf15HIP_vector_typeIdLj2EES7_SJ_SE_EEvSA_SG_RKT3_T4_EUlifE_EEvlNS_15PhiloxCudaStateESF_SG_
; %bb.0:
	s_load_dword s2, s[4:5], 0x20
	s_load_dwordx2 s[0:1], s[4:5], 0x10
	s_load_dwordx4 s[8:11], s[4:5], 0x0
	s_waitcnt lgkmcnt(0)
	s_bitcmp0_b32 s2, 0
	s_mov_b32 s2, 0
	v_pk_mov_b32 v[2:3], s[0:1], s[0:1] op_sel:[0,1]
	v_pk_mov_b32 v[14:15], s[10:11], s[10:11] op_sel:[0,1]
	s_cbranch_scc1 .LBB4_2
; %bb.1:
	v_pk_mov_b32 v[2:3], s[0:1], s[0:1] op_sel:[0,1]
	flat_load_dwordx2 v[2:3], v[2:3]
	v_pk_mov_b32 v[4:5], s[10:11], s[10:11] op_sel:[0,1]
	flat_load_dwordx2 v[14:15], v[4:5]
	s_load_dwordx2 s[0:1], s[4:5], 0x18
	s_waitcnt lgkmcnt(0)
	v_mov_b32_e32 v1, s1
	s_waitcnt vmcnt(0)
	v_add_co_u32_e32 v2, vcc, s0, v2
	v_addc_co_u32_e32 v3, vcc, v3, v1, vcc
.LBB4_2:
	s_load_dword s0, s[4:5], 0x54
	s_load_dword s17, s[4:5], 0x48
	s_waitcnt lgkmcnt(0)
	s_and_b32 s7, s0, 0xffff
	s_add_u32 s10, s8, -1
	s_mul_i32 s12, s17, s7
	s_addc_u32 s3, s9, -1
	s_lshl_b32 s13, s12, 2
	s_cmp_lg_u64 s[2:3], 0
	s_mov_b64 s[0:1], -1
	s_cbranch_scc0 .LBB4_27
; %bb.3:
	v_cvt_f32_u32_e32 v1, s13
	v_cvt_f32_ubyte0_e32 v4, 0
	s_sub_u32 s2, 0, s13
	s_subb_u32 s11, 0, 0
	v_madmk_f32 v1, v4, 0x4f800000, v1
	v_rcp_f32_e32 v1, v1
	v_mul_f32_e32 v1, 0x5f7ffffc, v1
	v_mul_f32_e32 v4, 0x2f800000, v1
	v_trunc_f32_e32 v4, v4
	v_madmk_f32 v1, v4, 0xcf800000, v1
	v_cvt_u32_f32_e32 v4, v4
	v_cvt_u32_f32_e32 v1, v1
	v_readfirstlane_b32 s14, v4
	v_readfirstlane_b32 s15, v1
	s_mul_i32 s16, s2, s14
	s_mul_hi_u32 s19, s2, s15
	s_mul_i32 s18, s11, s15
	s_add_i32 s16, s19, s16
	s_add_i32 s16, s16, s18
	s_mul_i32 s20, s2, s15
	s_mul_hi_u32 s18, s15, s16
	s_mul_i32 s19, s15, s16
	s_mul_hi_u32 s15, s15, s20
	s_add_u32 s15, s15, s19
	s_addc_u32 s18, 0, s18
	s_mul_hi_u32 s21, s14, s20
	s_mul_i32 s20, s14, s20
	s_add_u32 s15, s15, s20
	s_mul_hi_u32 s19, s14, s16
	s_addc_u32 s15, s18, s21
	s_addc_u32 s18, s19, 0
	s_mul_i32 s16, s14, s16
	s_add_u32 s15, s15, s16
	s_addc_u32 s16, 0, s18
	v_add_co_u32_e32 v1, vcc, s15, v1
	s_cmp_lg_u64 vcc, 0
	s_addc_u32 s14, s14, s16
	v_readfirstlane_b32 s16, v1
	s_mul_i32 s15, s2, s14
	s_mul_hi_u32 s18, s2, s16
	s_add_i32 s15, s18, s15
	s_mul_i32 s11, s11, s16
	s_add_i32 s15, s15, s11
	s_mul_i32 s2, s2, s16
	s_mul_hi_u32 s18, s14, s2
	s_mul_i32 s19, s14, s2
	s_mul_i32 s21, s16, s15
	s_mul_hi_u32 s2, s16, s2
	s_mul_hi_u32 s20, s16, s15
	s_add_u32 s2, s2, s21
	s_addc_u32 s16, 0, s20
	s_add_u32 s2, s2, s19
	s_mul_hi_u32 s11, s14, s15
	s_addc_u32 s2, s16, s18
	s_addc_u32 s11, s11, 0
	s_mul_i32 s15, s14, s15
	s_add_u32 s2, s2, s15
	s_addc_u32 s11, 0, s11
	v_add_co_u32_e32 v1, vcc, s2, v1
	s_cmp_lg_u64 vcc, 0
	s_addc_u32 s11, s14, s11
	s_ashr_i32 s14, s3, 31
	s_add_u32 s2, s10, s14
	s_mov_b32 s15, s14
	s_addc_u32 s3, s3, s14
	s_xor_b64 s[2:3], s[2:3], s[14:15]
	v_readfirstlane_b32 s19, v1
	s_mul_i32 s18, s2, s11
	s_mul_hi_u32 s20, s2, s19
	s_mul_hi_u32 s16, s2, s11
	s_add_u32 s18, s20, s18
	s_addc_u32 s16, 0, s16
	s_mul_hi_u32 s21, s3, s19
	s_mul_i32 s19, s3, s19
	s_add_u32 s18, s18, s19
	s_mul_hi_u32 s20, s3, s11
	s_addc_u32 s16, s16, s21
	s_addc_u32 s18, s20, 0
	s_mul_i32 s11, s3, s11
	s_add_u32 s11, s16, s11
	s_addc_u32 s16, 0, s18
	s_add_u32 s18, s11, 1
	s_addc_u32 s19, s16, 0
	s_add_u32 s20, s11, 2
	s_mul_i32 s22, s13, s16
	s_mul_hi_u32 s23, s13, s11
	s_addc_u32 s21, s16, 0
	s_add_i32 s23, s23, s22
	s_mul_i32 s22, s13, s11
	v_mov_b32_e32 v1, s22
	v_sub_co_u32_e32 v1, vcc, s2, v1
	s_cmp_lg_u64 vcc, 0
	s_subb_u32 s2, s3, s23
	v_subrev_co_u32_e32 v4, vcc, s13, v1
	s_cmp_lg_u64 vcc, 0
	s_subb_u32 s3, s2, 0
	v_readfirstlane_b32 s22, v4
	s_cmp_ge_u32 s22, s13
	s_cselect_b32 s22, -1, 0
	s_cmp_eq_u32 s3, 0
	s_cselect_b32 s3, s22, -1
	s_cmp_lg_u32 s3, 0
	s_cselect_b32 s3, s21, s19
	v_readfirstlane_b32 s19, v1
	s_cselect_b32 s18, s20, s18
	s_cmp_ge_u32 s19, s13
	s_cselect_b32 s19, -1, 0
	s_cmp_eq_u32 s2, 0
	s_cselect_b32 s2, s19, -1
	s_cmp_lg_u32 s2, 0
	s_cselect_b32 s3, s3, s16
	s_cselect_b32 s2, s18, s11
	s_xor_b64 s[2:3], s[2:3], s[14:15]
	s_sub_u32 s2, s2, s14
	s_subb_u32 s3, s3, s14
	s_cbranch_execnz .LBB4_5
.LBB4_4:
	v_cvt_f32_u32_e32 v1, s13
	s_sub_i32 s0, 0, s13
	s_mov_b32 s3, 0
	v_rcp_iflag_f32_e32 v1, v1
	v_mul_f32_e32 v1, 0x4f7ffffe, v1
	v_cvt_u32_f32_e32 v1, v1
	v_readfirstlane_b32 s1, v1
	s_mul_i32 s0, s0, s1
	s_mul_hi_u32 s0, s1, s0
	s_add_i32 s1, s1, s0
	s_mul_hi_u32 s0, s10, s1
	s_mul_i32 s2, s0, s13
	s_sub_i32 s2, s10, s2
	s_add_i32 s1, s0, 1
	s_sub_i32 s10, s2, s13
	s_cmp_ge_u32 s2, s13
	s_cselect_b32 s0, s1, s0
	s_cselect_b32 s2, s10, s2
	s_add_i32 s1, s0, 1
	s_cmp_ge_u32 s2, s13
	s_cselect_b32 s2, s1, s0
.LBB4_5:
	v_mov_b32_e32 v1, 0
	v_mov_b32_e32 v4, s6
	v_mad_u64_u32 v[16:17], s[0:1], s7, v4, v[0:1]
	s_add_u32 s0, s2, 1
	s_addc_u32 s1, s3, 0
	s_mul_hi_u32 s2, s17, s7
	s_mul_i32 s1, s12, s1
	s_mul_hi_u32 s3, s12, s0
	s_add_i32 s1, s3, s1
	s_mul_i32 s2, s2, s0
	s_add_i32 s1, s1, s2
	s_mul_i32 s0, s12, s0
	s_lshl_b64 s[2:3], s[0:1], 2
	v_cmp_gt_i64_e32 vcc, s[2:3], v[16:17]
	s_and_saveexec_b64 s[0:1], vcc
	s_cbranch_execz .LBB4_26
; %bb.6:
	s_load_dwordx2 s[10:11], s[4:5], 0x30
	s_load_dword s25, s[4:5], 0x38
	s_load_dwordx2 s[0:1], s[4:5], 0x40
	s_mov_b32 s4, 0x5384540f
	v_mov_b32_e32 v4, v15
	v_add_co_u32_e32 v22, vcc, s4, v14
	s_mov_b32 s4, 0x646e171e
	v_add_co_u32_e32 v23, vcc, s4, v4
	s_mov_b32 s4, 0x1715609d
	;; [unrolled: 2-line block ×6, first 2 shown]
	v_alignbit_b32 v29, v3, v2, 2
	s_mov_b32 s15, 0xd2511f53
	v_add_co_u32_e32 v28, vcc, s4, v14
	v_mad_u64_u32 v[6:7], s[4:5], v29, s15, 0
	v_xor_b32_e32 v1, v7, v15
	v_xor_b32_e32 v1, v1, v17
	s_mov_b32 s16, 0xcd9e8d57
	v_mad_u64_u32 v[8:9], s[4:5], v1, s16, 0
	v_xor_b32_e32 v1, v28, v9
	v_mad_u64_u32 v[10:11], s[4:5], v16, s16, 0
	v_and_b32_e32 v18, 3, v2
	v_xor_b32_e32 v1, v1, v10
	v_xor_b32_e32 v2, v14, v11
	v_lshrrev_b32_e32 v30, 2, v3
	v_mad_u64_u32 v[12:13], s[4:5], v1, s15, 0
	v_xor_b32_e32 v2, v2, v30
	v_xor_b32_e32 v1, v27, v13
	v_mad_u64_u32 v[2:3], s[4:5], v2, s15, 0
	v_xor_b32_e32 v1, v1, v2
	v_mad_u64_u32 v[10:11], s[4:5], v1, s16, 0
	s_mov_b32 s4, 0xbb67ae85
	v_add_co_u32_e32 v31, vcc, s4, v4
	v_xor_b32_e32 v2, v31, v3
	v_xor_b32_e32 v2, v2, v6
	v_xor_b32_e32 v1, v26, v11
	v_mad_u64_u32 v[2:3], s[4:5], v2, s16, 0
	v_xor_b32_e32 v1, v1, v2
	v_mad_u64_u32 v[6:7], s[4:5], v1, s15, 0
	s_mov_b32 s4, 0x3c6ef372
	v_add_co_u32_e32 v32, vcc, s4, v14
	v_xor_b32_e32 v2, v32, v3
	;; [unrolled: 8-line block ×6, first 2 shown]
	v_add_co_u32_e32 v21, vcc, 0xdb3d7428, v4
	v_xor_b32_e32 v2, v2, v8
	v_xor_b32_e32 v1, v21, v41
	v_mad_u64_u32 v[2:3], s[4:5], v2, s15, 0
	v_xor_b32_e32 v1, v1, v2
	v_mad_u64_u32 v[8:9], s[4:5], v1, s16, 0
	s_mov_b32 s4, 0x1fd5c5a3
	v_add_co_u32_e32 v37, vcc, s4, v4
	v_xor_b32_e32 v1, v37, v3
	v_xor_b32_e32 v1, v1, v12
	v_mad_u64_u32 v[2:3], s[4:5], v1, s16, 0
	s_mov_b32 s4, 0xf1bbcdc8
	v_add_u32_e32 v19, 0x8ff34781, v14
	v_xor_b32_e32 v1, v9, v2
	v_add_co_u32_e32 v38, vcc, s4, v14
	v_xor_b32_e32 v2, v19, v1
	v_xor_b32_e32 v1, v38, v3
	;; [unrolled: 1-line block ×3, first 2 shown]
	v_mad_u64_u32 v[6:7], s[4:5], v1, s15, 0
	v_add_u32_e32 v20, 0x96a522ad, v15
	v_xor_b32_e32 v1, v7, v40
	v_xor_b32_e32 v4, v20, v1
	s_waitcnt lgkmcnt(0)
	v_cvt_f32_f64_e32 v1, s[0:1]
	v_sub_f32_e32 v5, 1.0, v1
	v_add_f32_e32 v7, -1.0, v5
	v_mov_b32_e32 v3, v8
	v_sub_f32_e32 v8, v7, v5
	v_add_f32_e32 v8, 1.0, v8
	v_sub_f32_e64 v7, -v1, v7
	v_add_f32_e32 v7, v7, v8
	v_frexp_mant_f32_e32 v10, v5
	s_mov_b32 s0, 0x3f2aaaab
	v_cvt_f64_f32_e32 v[8:9], v5
	v_frexp_exp_i32_f64_e32 v8, v[8:9]
	v_cmp_gt_f32_e32 vcc, s0, v10
	v_subbrev_co_u32_e32 v8, vcc, 0, v8, vcc
	v_sub_u32_e32 v9, 0, v8
	v_ldexp_f32 v5, v5, v9
	v_ldexp_f32 v7, v7, v9
	v_add_f32_e32 v9, -1.0, v5
	v_add_f32_e32 v12, 1.0, v5
	v_add_f32_e32 v10, 1.0, v9
	v_add_f32_e32 v13, -1.0, v12
	v_sub_f32_e32 v10, v5, v10
	v_sub_f32_e32 v5, v5, v13
	v_add_f32_e32 v5, v7, v5
	v_add_f32_e32 v10, v7, v10
	;; [unrolled: 1-line block ×3, first 2 shown]
	v_rcp_f32_e32 v13, v7
	v_add_f32_e32 v11, v9, v10
	v_sub_f32_e32 v9, v11, v9
	v_sub_f32_e32 v9, v10, v9
	v_sub_f32_e32 v10, v7, v12
	v_sub_f32_e32 v5, v5, v10
	v_mul_f32_e32 v10, v11, v13
	v_mul_f32_e32 v12, v7, v10
	v_fma_f32 v39, v10, v7, -v12
	v_fmac_f32_e32 v39, v10, v5
	v_add_f32_e32 v40, v12, v39
	v_sub_f32_e32 v41, v11, v40
	v_sub_f32_e32 v11, v11, v41
	;; [unrolled: 1-line block ×4, first 2 shown]
	v_add_f32_e32 v9, v9, v11
	v_sub_f32_e32 v11, v12, v39
	v_add_f32_e32 v9, v11, v9
	v_add_f32_e32 v11, v41, v9
	v_mul_f32_e32 v12, v13, v11
	v_mul_f32_e32 v39, v7, v12
	v_fma_f32 v7, v12, v7, -v39
	v_fmac_f32_e32 v7, v12, v5
	v_sub_f32_e32 v5, v41, v11
	v_add_f32_e32 v5, v9, v5
	v_add_f32_e32 v9, v39, v7
	v_sub_f32_e32 v40, v11, v9
	v_sub_f32_e32 v11, v11, v40
	;; [unrolled: 1-line block ×4, first 2 shown]
	v_add_f32_e32 v5, v5, v9
	v_sub_f32_e32 v7, v39, v7
	v_add_f32_e32 v5, v7, v5
	v_add_f32_e32 v7, v10, v12
	;; [unrolled: 1-line block ×3, first 2 shown]
	v_sub_f32_e32 v9, v7, v10
	v_mul_f32_e32 v5, v13, v5
	v_sub_f32_e32 v9, v12, v9
	v_add_f32_e32 v5, v9, v5
	v_cvt_f32_i32_e32 v8, v8
	v_add_f32_e32 v9, v7, v5
	v_mul_f32_e32 v10, v9, v9
	v_mov_b32_e32 v11, 0x3ecc95a3
	v_fmac_f32_e32 v11, 0x3e9b6dac, v10
	v_mov_b32_e32 v12, 0x3f2aaada
	v_fmac_f32_e32 v12, v10, v11
	s_mov_b32 s0, 0x3f317218
	v_mul_f32_e32 v11, 0x3f317218, v8
	v_fma_f32 v13, v8, s0, -v11
	v_fmac_f32_e32 v13, 0xb102e308, v8
	v_sub_f32_e32 v7, v9, v7
	v_sub_f32_e32 v5, v5, v7
	v_add_f32_e32 v7, v11, v13
	v_sub_f32_e32 v8, v7, v11
	v_ldexp_f32 v11, v9, 1
	v_mul_f32_e32 v9, v9, v10
	v_mul_f32_e32 v9, v9, v12
	v_add_f32_e32 v10, v11, v9
	v_sub_f32_e32 v11, v10, v11
	v_ldexp_f32 v5, v5, 1
	v_sub_f32_e32 v9, v9, v11
	v_add_f32_e32 v5, v5, v9
	v_add_f32_e32 v9, v10, v5
	v_sub_f32_e32 v10, v9, v10
	v_sub_f32_e32 v5, v5, v10
	v_add_f32_e32 v10, v7, v9
	v_sub_f32_e32 v11, v10, v7
	v_sub_f32_e32 v12, v10, v11
	;; [unrolled: 1-line block ×5, first 2 shown]
	v_add_f32_e32 v7, v9, v7
	v_add_f32_e32 v9, v8, v5
	v_sub_f32_e32 v11, v9, v8
	v_sub_f32_e32 v12, v9, v11
	;; [unrolled: 1-line block ×4, first 2 shown]
	v_add_f32_e32 v7, v9, v7
	v_add_f32_e32 v5, v5, v8
	;; [unrolled: 1-line block ×3, first 2 shown]
	v_sub_f32_e32 v9, v8, v10
	v_sub_f32_e32 v7, v7, v9
	v_add_f32_e32 v5, v5, v7
	s_mov_b32 s0, 0xff800000
	v_add_f32_e32 v5, v8, v5
	v_cmp_eq_f32_e32 vcc, s0, v1
	v_cndmask_b32_e64 v5, v5, -v1, vcc
	v_mov_b32_e32 v7, 0x7fc00000
	v_cmp_nlt_f32_e32 vcc, 1.0, v1
	v_cndmask_b32_e32 v5, v7, v5, vcc
	v_mov_b32_e32 v7, 0xff800000
	v_cmp_neq_f32_e32 vcc, 1.0, v1
	s_mov_b32 s0, 0x33800000
	v_cndmask_b32_e32 v5, v7, v5, vcc
	v_log_f32_e32 v7, s0
	v_cmp_lt_f32_e64 s[0:1], |v1|, s0
	v_cndmask_b32_e64 v39, v5, -v1, s[0:1]
	s_mov_b32 s18, 0x3f317217
	v_mul_f32_e32 v1, 0x3f317217, v7
	v_fma_f32 v5, v7, s18, -v1
	v_fmac_f32_e32 v5, 0x3377d1cf, v7
	s_mov_b32 s19, 0x7f800000
	v_add_f32_e32 v1, v1, v5
	v_cmp_lt_f32_e64 vcc, |v7|, s19
	v_cndmask_b32_e32 v1, v7, v1, vcc
	v_div_scale_f32 v7, s[0:1], v39, v39, v1
	v_rcp_f32_e32 v8, v7
	v_mov_b32_e32 v5, v6
	s_mul_i32 s0, s6, s7
	s_mov_b32 s14, 0
	v_fma_f32 v6, -v7, v8, 1.0
	v_fmac_f32_e32 v8, v6, v8
	v_div_scale_f32 v6, vcc, v1, v39, v1
	v_mul_f32_e32 v9, v6, v8
	v_fma_f32 v10, -v7, v9, v6
	v_fmac_f32_e32 v9, v10, v8
	v_fma_f32 v6, -v7, v9, v6
	v_div_fmas_f32 v6, v6, v8, v9
	v_div_fixup_f32 v1, v6, v39, v1
	v_ceil_f32_e32 v1, v1
	v_cvt_i32_f32_e32 v40, v1
	v_add_u32_e32 v1, s0, v0
	s_mul_i32 s0, s17, s25
	s_mul_i32 s0, s0, s7
	s_lshl_b32 s24, s0, 2
	s_mul_i32 s0, s17, 3
	s_add_i32 s0, s6, s0
	s_mul_i32 s0, s0, s7
	v_mul_lo_u32 v41, s25, v1
	v_add_u32_e32 v1, s0, v0
	s_lshl_b32 s0, s17, 1
	s_add_i32 s0, s6, s0
	s_mul_i32 s0, s0, s7
	v_mul_lo_u32 v42, s25, v1
	v_add_u32_e32 v1, s0, v0
	s_add_i32 s0, s6, s17
	s_mul_i32 s0, s0, s7
	v_add_u32_e32 v0, s0, v0
	s_lshl_b32 s20, s12, 1
	s_mov_b32 s21, s14
	s_mul_i32 s22, s12, 3
	s_mov_b32 s23, s14
	v_mul_lo_u32 v43, s25, v1
	v_mul_lo_u32 v44, s25, v0
	s_mov_b64 s[4:5], 0
	s_mov_b32 s17, 0x800000
	v_mov_b32_e32 v45, 0x4f800000
	v_mov_b32_e32 v46, 0x41b17218
	s_mov_b32 s25, s14
	v_mov_b32_e32 v47, v16
	v_mov_b32_e32 v48, v17
	s_branch .LBB4_8
.LBB4_7:                                ;   in Loop: Header=BB4_8 Depth=1
	s_or_b64 exec, exec, s[0:1]
	v_add_co_u32_e32 v16, vcc, s13, v16
	v_addc_co_u32_e32 v17, vcc, 0, v17, vcc
	v_mov_b32_e32 v9, v0
	s_add_i32 s25, s25, s24
	v_cmp_le_i64_e32 vcc, s[2:3], v[16:17]
	v_pk_mov_b32 v[2:3], v[6:7], v[6:7] op_sel:[0,1]
	s_or_b64 s[4:5], vcc, s[4:5]
	v_pk_mov_b32 v[4:5], v[8:9], v[8:9] op_sel:[0,1]
	s_barrier
	s_andn2_b64 exec, exec, s[4:5]
	s_cbranch_execz .LBB4_26
.LBB4_8:                                ; =>This Inner Loop Header: Depth=1
	v_add_co_u32_e32 v29, vcc, 1, v29
	v_cndmask_b32_e64 v0, 0, 1, vcc
	v_addc_co_u32_e32 v30, vcc, 0, v30, vcc
	v_cmp_eq_u32_e32 vcc, 0, v30
	v_cndmask_b32_e32 v0, 0, v0, vcc
	v_add_u32_e32 v47, v0, v47
	v_cmp_eq_u32_e32 vcc, 0, v47
	v_cndmask_b32_e32 v0, 0, v0, vcc
	v_add_u32_e32 v48, v0, v48
	v_mad_u64_u32 v[0:1], s[0:1], v29, s15, 0
	v_mad_u64_u32 v[6:7], s[0:1], v47, s16, 0
	v_xor_b32_e32 v1, v1, v15
	v_xor_b32_e32 v7, v7, v14
	v_xor_b32_e32 v1, v48, v1
	v_xor_b32_e32 v7, v30, v7
	v_mad_u64_u32 v[10:11], s[0:1], v1, s16, 0
	v_mad_u64_u32 v[8:9], s[0:1], v7, s15, 0
	v_xor_b32_e32 v1, v28, v11
	v_xor_b32_e32 v1, v1, v6
	v_xor_b32_e32 v6, v31, v9
	v_xor_b32_e32 v6, v6, v0
	;; [unrolled: 6-line block ×10, first 2 shown]
	v_mov_b32_e32 v7, v12
	v_mov_b32_e32 v8, v13
	v_cmp_lt_i32_e32 vcc, 1, v18
	s_and_saveexec_b64 s[0:1], vcc
	s_xor_b64 s[0:1], exec, s[0:1]
	s_cbranch_execnz .LBB4_18
; %bb.9:                                ;   in Loop: Header=BB4_8 Depth=1
	s_andn2_saveexec_b64 s[0:1], s[0:1]
	s_cbranch_execnz .LBB4_23
.LBB4_10:                               ;   in Loop: Header=BB4_8 Depth=1
	s_or_b64 exec, exec, s[0:1]
	v_cmp_gt_i64_e32 vcc, s[8:9], v[16:17]
	s_and_saveexec_b64 s[6:7], vcc
	s_cbranch_execz .LBB4_12
.LBB4_11:                               ;   in Loop: Header=BB4_8 Depth=1
	v_lshrrev_b32_e32 v1, 11, v3
	v_cvt_f64_u32_e32 v[10:11], v1
	v_ldexp_f64 v[10:11], v[10:11], 32
	v_cvt_f64_u32_e32 v[2:3], v2
	v_add_f64 v[2:3], v[10:11], v[2:3]
	v_mov_b32_e32 v10, 0
	v_mov_b32_e32 v11, 0x3ca00000
	v_fmac_f64_e32 v[10:11], 0x3ca00000, v[2:3]
	v_cvt_f32_f64_e32 v1, v[10:11]
	v_cmp_gt_f32_e32 vcc, s17, v1
	v_cndmask_b32_e32 v2, 1.0, v45, vcc
	v_mul_f32_e32 v1, v1, v2
	v_log_f32_e32 v1, v1
	v_add_u32_e32 v9, s25, v41
	v_ashrrev_i32_e32 v10, 31, v9
	v_mov_b32_e32 v11, s11
	v_mul_f32_e32 v2, 0x3f317217, v1
	v_fma_f32 v3, v1, s18, -v2
	v_fmac_f32_e32 v3, 0x3377d1cf, v1
	v_add_f32_e32 v2, v2, v3
	v_cmp_lt_f32_e64 s[0:1], |v1|, s19
	v_cndmask_b32_e64 v1, v1, v2, s[0:1]
	v_cndmask_b32_e32 v2, 0, v46, vcc
	v_sub_f32_e32 v1, v1, v2
	v_div_scale_f32 v2, s[0:1], v39, v39, v1
	v_rcp_f32_e32 v3, v2
	v_fma_f32 v12, -v2, v3, 1.0
	v_fmac_f32_e32 v3, v12, v3
	v_div_scale_f32 v12, vcc, v1, v39, v1
	v_mul_f32_e32 v13, v12, v3
	v_fma_f32 v49, -v2, v13, v12
	v_fmac_f32_e32 v13, v49, v3
	v_fma_f32 v2, -v2, v13, v12
	v_div_fmas_f32 v2, v2, v3, v13
	v_div_fixup_f32 v1, v2, v39, v1
	v_ceil_f32_e32 v1, v1
	v_cvt_i32_f32_e32 v1, v1
	v_add_co_u32_e32 v2, vcc, s10, v9
	v_addc_co_u32_e32 v3, vcc, v11, v10, vcc
	global_store_byte v[2:3], v1, off
.LBB4_12:                               ;   in Loop: Header=BB4_8 Depth=1
	s_or_b64 exec, exec, s[6:7]
	v_mov_b32_e32 v1, s14
	v_add_co_u32_e32 v2, vcc, s12, v16
	v_addc_co_u32_e32 v3, vcc, v1, v17, vcc
	v_cmp_gt_i64_e32 vcc, s[8:9], v[2:3]
	s_and_saveexec_b64 s[6:7], vcc
	s_cbranch_execz .LBB4_14
; %bb.13:                               ;   in Loop: Header=BB4_8 Depth=1
	v_lshrrev_b32_e32 v1, 11, v5
	v_cvt_f64_u32_e32 v[2:3], v1
	v_ldexp_f64 v[2:3], v[2:3], 32
	v_cvt_f64_u32_e32 v[4:5], v4
	v_add_f64 v[2:3], v[2:3], v[4:5]
	v_mov_b32_e32 v4, 0
	v_mov_b32_e32 v5, 0x3ca00000
	v_fmac_f64_e32 v[4:5], 0x3ca00000, v[2:3]
	v_cvt_f32_f64_e32 v1, v[4:5]
	v_cmp_gt_f32_e32 vcc, s17, v1
	v_cndmask_b32_e32 v2, 1.0, v45, vcc
	v_mul_f32_e32 v1, v1, v2
	v_log_f32_e32 v1, v1
	v_add_u32_e32 v4, s25, v44
	v_ashrrev_i32_e32 v5, 31, v4
	v_mov_b32_e32 v9, s11
	v_mul_f32_e32 v2, 0x3f317217, v1
	v_fma_f32 v3, v1, s18, -v2
	v_fmac_f32_e32 v3, 0x3377d1cf, v1
	v_add_f32_e32 v2, v2, v3
	v_cmp_lt_f32_e64 s[0:1], |v1|, s19
	v_cndmask_b32_e64 v1, v1, v2, s[0:1]
	v_cndmask_b32_e32 v2, 0, v46, vcc
	v_sub_f32_e32 v1, v1, v2
	v_div_scale_f32 v2, s[0:1], v39, v39, v1
	v_rcp_f32_e32 v3, v2
	v_fma_f32 v10, -v2, v3, 1.0
	v_fmac_f32_e32 v3, v10, v3
	v_div_scale_f32 v10, vcc, v1, v39, v1
	v_mul_f32_e32 v11, v10, v3
	v_fma_f32 v12, -v2, v11, v10
	v_fmac_f32_e32 v11, v12, v3
	v_fma_f32 v2, -v2, v11, v10
	v_div_fmas_f32 v2, v2, v3, v11
	v_div_fixup_f32 v1, v2, v39, v1
	v_ceil_f32_e32 v1, v1
	v_cvt_i32_f32_e32 v1, v1
	v_add_co_u32_e32 v2, vcc, s10, v4
	v_addc_co_u32_e32 v3, vcc, v9, v5, vcc
	global_store_byte v[2:3], v1, off
.LBB4_14:                               ;   in Loop: Header=BB4_8 Depth=1
	s_or_b64 exec, exec, s[6:7]
	v_mov_b32_e32 v1, s21
	v_add_co_u32_e32 v2, vcc, s20, v16
	v_addc_co_u32_e32 v3, vcc, v1, v17, vcc
	v_cmp_gt_i64_e32 vcc, s[8:9], v[2:3]
	s_and_saveexec_b64 s[0:1], vcc
	s_cbranch_execz .LBB4_16
; %bb.15:                               ;   in Loop: Header=BB4_8 Depth=1
	v_add_u32_e32 v1, s25, v43
	v_ashrrev_i32_e32 v3, 31, v1
	v_mov_b32_e32 v4, s11
	v_add_co_u32_e32 v2, vcc, s10, v1
	v_addc_co_u32_e32 v3, vcc, v4, v3, vcc
	global_store_byte v[2:3], v40, off
.LBB4_16:                               ;   in Loop: Header=BB4_8 Depth=1
	s_or_b64 exec, exec, s[0:1]
	v_mov_b32_e32 v1, s23
	v_add_co_u32_e32 v2, vcc, s22, v16
	v_addc_co_u32_e32 v3, vcc, v1, v17, vcc
	v_cmp_gt_i64_e32 vcc, s[8:9], v[2:3]
	s_and_saveexec_b64 s[0:1], vcc
	s_cbranch_execz .LBB4_7
; %bb.17:                               ;   in Loop: Header=BB4_8 Depth=1
	v_add_u32_e32 v1, s25, v42
	v_ashrrev_i32_e32 v3, 31, v1
	v_mov_b32_e32 v4, s11
	v_add_co_u32_e32 v2, vcc, s10, v1
	v_addc_co_u32_e32 v3, vcc, v4, v3, vcc
	global_store_byte v[2:3], v40, off
	s_branch .LBB4_7
.LBB4_18:                               ;   in Loop: Header=BB4_8 Depth=1
	v_cmp_lt_i32_e32 vcc, 2, v18
	s_and_saveexec_b64 s[6:7], vcc
	s_xor_b64 s[6:7], exec, s[6:7]
; %bb.19:                               ;   in Loop: Header=BB4_8 Depth=1
	v_mov_b32_e32 v10, v5
	v_mov_b32_e32 v11, v6
	v_pk_mov_b32 v[2:3], v[10:11], v[10:11] op_sel:[0,1]
	v_pk_mov_b32 v[4:5], v[12:13], v[12:13] op_sel:[0,1]
                                        ; implicit-def: $vgpr12_vgpr13
; %bb.20:                               ;   in Loop: Header=BB4_8 Depth=1
	s_andn2_saveexec_b64 s[6:7], s[6:7]
; %bb.21:                               ;   in Loop: Header=BB4_8 Depth=1
	v_mov_b32_e32 v2, v4
	v_mov_b32_e32 v3, v5
	;; [unrolled: 1-line block ×4, first 2 shown]
; %bb.22:                               ;   in Loop: Header=BB4_8 Depth=1
	s_or_b64 exec, exec, s[6:7]
	s_andn2_saveexec_b64 s[0:1], s[0:1]
	s_cbranch_execz .LBB4_10
.LBB4_23:                               ;   in Loop: Header=BB4_8 Depth=1
	v_cmp_eq_u32_e32 vcc, 1, v18
	s_and_saveexec_b64 s[6:7], vcc
; %bb.24:                               ;   in Loop: Header=BB4_8 Depth=1
	v_mov_b32_e32 v2, v3
	v_mov_b32_e32 v3, v4
	;; [unrolled: 1-line block ×4, first 2 shown]
; %bb.25:                               ;   in Loop: Header=BB4_8 Depth=1
	s_or_b64 exec, exec, s[6:7]
	s_or_b64 exec, exec, s[0:1]
	v_cmp_gt_i64_e32 vcc, s[8:9], v[16:17]
	s_and_saveexec_b64 s[6:7], vcc
	s_cbranch_execnz .LBB4_11
	s_branch .LBB4_12
.LBB4_26:
	s_endpgm
.LBB4_27:
                                        ; implicit-def: $sgpr2_sgpr3
	s_andn2_b64 vcc, exec, s[0:1]
	s_cbranch_vccz .LBB4_4
	s_branch .LBB4_5
	.section	.rodata,"a",@progbits
	.p2align	6, 0x0
	.amdhsa_kernel _ZN2at6native12_GLOBAL__N_143distribution_elementwise_grid_stride_kernelIfLi4EZNS0_9templates4cuda21uniform_and_transformIafPNS_17CUDAGeneratorImplEZZZNS4_16geometric_kernelIS7_EEvRNS_18TensorIteratorBaseEdT_ENKUlvE_clEvENKUlvE0_clEvEUlfE_EEvSA_T1_T2_EUlP25hiprandStatePhilox4_32_10E_ZNS1_27distribution_nullary_kernelIaf15HIP_vector_typeIdLj2EES7_SJ_SE_EEvSA_SG_RKT3_T4_EUlifE_EEvlNS_15PhiloxCudaStateESF_SG_
		.amdhsa_group_segment_fixed_size 0
		.amdhsa_private_segment_fixed_size 0
		.amdhsa_kernarg_size 328
		.amdhsa_user_sgpr_count 6
		.amdhsa_user_sgpr_private_segment_buffer 1
		.amdhsa_user_sgpr_dispatch_ptr 0
		.amdhsa_user_sgpr_queue_ptr 0
		.amdhsa_user_sgpr_kernarg_segment_ptr 1
		.amdhsa_user_sgpr_dispatch_id 0
		.amdhsa_user_sgpr_flat_scratch_init 0
		.amdhsa_user_sgpr_kernarg_preload_length 0
		.amdhsa_user_sgpr_kernarg_preload_offset 0
		.amdhsa_user_sgpr_private_segment_size 0
		.amdhsa_uses_dynamic_stack 0
		.amdhsa_system_sgpr_private_segment_wavefront_offset 0
		.amdhsa_system_sgpr_workgroup_id_x 1
		.amdhsa_system_sgpr_workgroup_id_y 0
		.amdhsa_system_sgpr_workgroup_id_z 0
		.amdhsa_system_sgpr_workgroup_info 0
		.amdhsa_system_vgpr_workitem_id 0
		.amdhsa_next_free_vgpr 52
		.amdhsa_next_free_sgpr 26
		.amdhsa_accum_offset 52
		.amdhsa_reserve_vcc 1
		.amdhsa_reserve_flat_scratch 0
		.amdhsa_float_round_mode_32 0
		.amdhsa_float_round_mode_16_64 0
		.amdhsa_float_denorm_mode_32 3
		.amdhsa_float_denorm_mode_16_64 3
		.amdhsa_dx10_clamp 1
		.amdhsa_ieee_mode 1
		.amdhsa_fp16_overflow 0
		.amdhsa_tg_split 0
		.amdhsa_exception_fp_ieee_invalid_op 0
		.amdhsa_exception_fp_denorm_src 0
		.amdhsa_exception_fp_ieee_div_zero 0
		.amdhsa_exception_fp_ieee_overflow 0
		.amdhsa_exception_fp_ieee_underflow 0
		.amdhsa_exception_fp_ieee_inexact 0
		.amdhsa_exception_int_div_zero 0
	.end_amdhsa_kernel
	.section	.text._ZN2at6native12_GLOBAL__N_143distribution_elementwise_grid_stride_kernelIfLi4EZNS0_9templates4cuda21uniform_and_transformIafPNS_17CUDAGeneratorImplEZZZNS4_16geometric_kernelIS7_EEvRNS_18TensorIteratorBaseEdT_ENKUlvE_clEvENKUlvE0_clEvEUlfE_EEvSA_T1_T2_EUlP25hiprandStatePhilox4_32_10E_ZNS1_27distribution_nullary_kernelIaf15HIP_vector_typeIdLj2EES7_SJ_SE_EEvSA_SG_RKT3_T4_EUlifE_EEvlNS_15PhiloxCudaStateESF_SG_,"axG",@progbits,_ZN2at6native12_GLOBAL__N_143distribution_elementwise_grid_stride_kernelIfLi4EZNS0_9templates4cuda21uniform_and_transformIafPNS_17CUDAGeneratorImplEZZZNS4_16geometric_kernelIS7_EEvRNS_18TensorIteratorBaseEdT_ENKUlvE_clEvENKUlvE0_clEvEUlfE_EEvSA_T1_T2_EUlP25hiprandStatePhilox4_32_10E_ZNS1_27distribution_nullary_kernelIaf15HIP_vector_typeIdLj2EES7_SJ_SE_EEvSA_SG_RKT3_T4_EUlifE_EEvlNS_15PhiloxCudaStateESF_SG_,comdat
.Lfunc_end4:
	.size	_ZN2at6native12_GLOBAL__N_143distribution_elementwise_grid_stride_kernelIfLi4EZNS0_9templates4cuda21uniform_and_transformIafPNS_17CUDAGeneratorImplEZZZNS4_16geometric_kernelIS7_EEvRNS_18TensorIteratorBaseEdT_ENKUlvE_clEvENKUlvE0_clEvEUlfE_EEvSA_T1_T2_EUlP25hiprandStatePhilox4_32_10E_ZNS1_27distribution_nullary_kernelIaf15HIP_vector_typeIdLj2EES7_SJ_SE_EEvSA_SG_RKT3_T4_EUlifE_EEvlNS_15PhiloxCudaStateESF_SG_, .Lfunc_end4-_ZN2at6native12_GLOBAL__N_143distribution_elementwise_grid_stride_kernelIfLi4EZNS0_9templates4cuda21uniform_and_transformIafPNS_17CUDAGeneratorImplEZZZNS4_16geometric_kernelIS7_EEvRNS_18TensorIteratorBaseEdT_ENKUlvE_clEvENKUlvE0_clEvEUlfE_EEvSA_T1_T2_EUlP25hiprandStatePhilox4_32_10E_ZNS1_27distribution_nullary_kernelIaf15HIP_vector_typeIdLj2EES7_SJ_SE_EEvSA_SG_RKT3_T4_EUlifE_EEvlNS_15PhiloxCudaStateESF_SG_
                                        ; -- End function
	.section	.AMDGPU.csdata,"",@progbits
; Kernel info:
; codeLenInByte = 3480
; NumSgprs: 30
; NumVgprs: 52
; NumAgprs: 0
; TotalNumVgprs: 52
; ScratchSize: 0
; MemoryBound: 0
; FloatMode: 240
; IeeeMode: 1
; LDSByteSize: 0 bytes/workgroup (compile time only)
; SGPRBlocks: 3
; VGPRBlocks: 6
; NumSGPRsForWavesPerEU: 30
; NumVGPRsForWavesPerEU: 52
; AccumOffset: 52
; Occupancy: 8
; WaveLimiterHint : 0
; COMPUTE_PGM_RSRC2:SCRATCH_EN: 0
; COMPUTE_PGM_RSRC2:USER_SGPR: 6
; COMPUTE_PGM_RSRC2:TRAP_HANDLER: 0
; COMPUTE_PGM_RSRC2:TGID_X_EN: 1
; COMPUTE_PGM_RSRC2:TGID_Y_EN: 0
; COMPUTE_PGM_RSRC2:TGID_Z_EN: 0
; COMPUTE_PGM_RSRC2:TIDIG_COMP_CNT: 0
; COMPUTE_PGM_RSRC3_GFX90A:ACCUM_OFFSET: 12
; COMPUTE_PGM_RSRC3_GFX90A:TG_SPLIT: 0
	.section	.text._ZN2at6native12_GLOBAL__N_143distribution_elementwise_grid_stride_kernelIfLi4EZNS0_9templates4cuda21uniform_and_transformIafPNS_17CUDAGeneratorImplEZZZNS4_16geometric_kernelIS7_EEvRNS_18TensorIteratorBaseEdT_ENKUlvE_clEvENKUlvE0_clEvEUlfE_EEvSA_T1_T2_EUlP25hiprandStatePhilox4_32_10E_ZNS1_27distribution_nullary_kernelIaf15HIP_vector_typeIdLj2EES7_SJ_SE_EEvSA_SG_RKT3_T4_EUlifE0_EEvlNS_15PhiloxCudaStateESF_SG_,"axG",@progbits,_ZN2at6native12_GLOBAL__N_143distribution_elementwise_grid_stride_kernelIfLi4EZNS0_9templates4cuda21uniform_and_transformIafPNS_17CUDAGeneratorImplEZZZNS4_16geometric_kernelIS7_EEvRNS_18TensorIteratorBaseEdT_ENKUlvE_clEvENKUlvE0_clEvEUlfE_EEvSA_T1_T2_EUlP25hiprandStatePhilox4_32_10E_ZNS1_27distribution_nullary_kernelIaf15HIP_vector_typeIdLj2EES7_SJ_SE_EEvSA_SG_RKT3_T4_EUlifE0_EEvlNS_15PhiloxCudaStateESF_SG_,comdat
	.globl	_ZN2at6native12_GLOBAL__N_143distribution_elementwise_grid_stride_kernelIfLi4EZNS0_9templates4cuda21uniform_and_transformIafPNS_17CUDAGeneratorImplEZZZNS4_16geometric_kernelIS7_EEvRNS_18TensorIteratorBaseEdT_ENKUlvE_clEvENKUlvE0_clEvEUlfE_EEvSA_T1_T2_EUlP25hiprandStatePhilox4_32_10E_ZNS1_27distribution_nullary_kernelIaf15HIP_vector_typeIdLj2EES7_SJ_SE_EEvSA_SG_RKT3_T4_EUlifE0_EEvlNS_15PhiloxCudaStateESF_SG_ ; -- Begin function _ZN2at6native12_GLOBAL__N_143distribution_elementwise_grid_stride_kernelIfLi4EZNS0_9templates4cuda21uniform_and_transformIafPNS_17CUDAGeneratorImplEZZZNS4_16geometric_kernelIS7_EEvRNS_18TensorIteratorBaseEdT_ENKUlvE_clEvENKUlvE0_clEvEUlfE_EEvSA_T1_T2_EUlP25hiprandStatePhilox4_32_10E_ZNS1_27distribution_nullary_kernelIaf15HIP_vector_typeIdLj2EES7_SJ_SE_EEvSA_SG_RKT3_T4_EUlifE0_EEvlNS_15PhiloxCudaStateESF_SG_
	.p2align	8
	.type	_ZN2at6native12_GLOBAL__N_143distribution_elementwise_grid_stride_kernelIfLi4EZNS0_9templates4cuda21uniform_and_transformIafPNS_17CUDAGeneratorImplEZZZNS4_16geometric_kernelIS7_EEvRNS_18TensorIteratorBaseEdT_ENKUlvE_clEvENKUlvE0_clEvEUlfE_EEvSA_T1_T2_EUlP25hiprandStatePhilox4_32_10E_ZNS1_27distribution_nullary_kernelIaf15HIP_vector_typeIdLj2EES7_SJ_SE_EEvSA_SG_RKT3_T4_EUlifE0_EEvlNS_15PhiloxCudaStateESF_SG_,@function
_ZN2at6native12_GLOBAL__N_143distribution_elementwise_grid_stride_kernelIfLi4EZNS0_9templates4cuda21uniform_and_transformIafPNS_17CUDAGeneratorImplEZZZNS4_16geometric_kernelIS7_EEvRNS_18TensorIteratorBaseEdT_ENKUlvE_clEvENKUlvE0_clEvEUlfE_EEvSA_T1_T2_EUlP25hiprandStatePhilox4_32_10E_ZNS1_27distribution_nullary_kernelIaf15HIP_vector_typeIdLj2EES7_SJ_SE_EEvSA_SG_RKT3_T4_EUlifE0_EEvlNS_15PhiloxCudaStateESF_SG_: ; @_ZN2at6native12_GLOBAL__N_143distribution_elementwise_grid_stride_kernelIfLi4EZNS0_9templates4cuda21uniform_and_transformIafPNS_17CUDAGeneratorImplEZZZNS4_16geometric_kernelIS7_EEvRNS_18TensorIteratorBaseEdT_ENKUlvE_clEvENKUlvE0_clEvEUlfE_EEvSA_T1_T2_EUlP25hiprandStatePhilox4_32_10E_ZNS1_27distribution_nullary_kernelIaf15HIP_vector_typeIdLj2EES7_SJ_SE_EEvSA_SG_RKT3_T4_EUlifE0_EEvlNS_15PhiloxCudaStateESF_SG_
; %bb.0:
	s_load_dword s2, s[4:5], 0x20
	s_load_dwordx2 s[0:1], s[4:5], 0x10
	s_load_dwordx4 s[24:27], s[4:5], 0x0
	s_waitcnt lgkmcnt(0)
	s_bitcmp0_b32 s2, 0
	s_mov_b32 s2, 0
	v_pk_mov_b32 v[2:3], s[0:1], s[0:1] op_sel:[0,1]
	v_pk_mov_b32 v[10:11], s[26:27], s[26:27] op_sel:[0,1]
	s_cbranch_scc1 .LBB5_2
; %bb.1:
	v_pk_mov_b32 v[2:3], s[0:1], s[0:1] op_sel:[0,1]
	flat_load_dwordx2 v[2:3], v[2:3]
	v_pk_mov_b32 v[4:5], s[26:27], s[26:27] op_sel:[0,1]
	flat_load_dwordx2 v[10:11], v[4:5]
	s_load_dwordx2 s[0:1], s[4:5], 0x18
	s_waitcnt lgkmcnt(0)
	v_mov_b32_e32 v1, s1
	s_waitcnt vmcnt(0)
	v_add_co_u32_e32 v2, vcc, s0, v2
	v_addc_co_u32_e32 v3, vcc, v3, v1, vcc
.LBB5_2:
	s_load_dword s0, s[4:5], 0x154
	s_load_dword s7, s[4:5], 0x148
	s_waitcnt lgkmcnt(0)
	s_and_b32 s8, s0, 0xffff
	s_add_u32 s9, s24, -1
	s_mul_i32 s33, s7, s8
	s_addc_u32 s3, s25, -1
	s_lshl_b32 s58, s33, 2
	s_cmp_lg_u64 s[2:3], 0
	s_mov_b64 s[0:1], -1
	s_cbranch_scc0 .LBB5_83
; %bb.3:
	v_cvt_f32_u32_e32 v1, s58
	v_cvt_f32_ubyte0_e32 v4, 0
	s_sub_u32 s2, 0, s58
	s_subb_u32 s10, 0, 0
	v_madmk_f32 v1, v4, 0x4f800000, v1
	v_rcp_f32_e32 v1, v1
	v_mul_f32_e32 v1, 0x5f7ffffc, v1
	v_mul_f32_e32 v4, 0x2f800000, v1
	v_trunc_f32_e32 v4, v4
	v_madmk_f32 v1, v4, 0xcf800000, v1
	v_cvt_u32_f32_e32 v4, v4
	v_cvt_u32_f32_e32 v1, v1
	v_readfirstlane_b32 s11, v4
	v_readfirstlane_b32 s12, v1
	s_mul_i32 s13, s2, s11
	s_mul_hi_u32 s15, s2, s12
	s_mul_i32 s14, s10, s12
	s_add_i32 s13, s15, s13
	s_add_i32 s13, s13, s14
	s_mul_i32 s16, s2, s12
	s_mul_hi_u32 s14, s12, s13
	s_mul_i32 s15, s12, s13
	s_mul_hi_u32 s12, s12, s16
	s_add_u32 s12, s12, s15
	s_addc_u32 s14, 0, s14
	s_mul_hi_u32 s17, s11, s16
	s_mul_i32 s16, s11, s16
	s_add_u32 s12, s12, s16
	s_mul_hi_u32 s15, s11, s13
	s_addc_u32 s12, s14, s17
	s_addc_u32 s14, s15, 0
	s_mul_i32 s13, s11, s13
	s_add_u32 s12, s12, s13
	s_addc_u32 s13, 0, s14
	v_add_co_u32_e32 v1, vcc, s12, v1
	s_cmp_lg_u64 vcc, 0
	s_addc_u32 s11, s11, s13
	v_readfirstlane_b32 s13, v1
	s_mul_i32 s12, s2, s11
	s_mul_hi_u32 s14, s2, s13
	s_add_i32 s12, s14, s12
	s_mul_i32 s10, s10, s13
	s_add_i32 s12, s12, s10
	s_mul_i32 s2, s2, s13
	s_mul_hi_u32 s14, s11, s2
	s_mul_i32 s15, s11, s2
	s_mul_i32 s17, s13, s12
	s_mul_hi_u32 s2, s13, s2
	s_mul_hi_u32 s16, s13, s12
	s_add_u32 s2, s2, s17
	s_addc_u32 s13, 0, s16
	s_add_u32 s2, s2, s15
	s_mul_hi_u32 s10, s11, s12
	s_addc_u32 s2, s13, s14
	s_addc_u32 s10, s10, 0
	s_mul_i32 s12, s11, s12
	s_add_u32 s2, s2, s12
	s_addc_u32 s10, 0, s10
	v_add_co_u32_e32 v1, vcc, s2, v1
	s_cmp_lg_u64 vcc, 0
	s_addc_u32 s12, s11, s10
	s_ashr_i32 s10, s3, 31
	s_add_u32 s2, s9, s10
	s_mov_b32 s11, s10
	s_addc_u32 s3, s3, s10
	s_xor_b64 s[2:3], s[2:3], s[10:11]
	v_readfirstlane_b32 s15, v1
	s_mul_i32 s14, s2, s12
	s_mul_hi_u32 s16, s2, s15
	s_mul_hi_u32 s13, s2, s12
	s_add_u32 s14, s16, s14
	s_addc_u32 s13, 0, s13
	s_mul_hi_u32 s17, s3, s15
	s_mul_i32 s15, s3, s15
	s_add_u32 s14, s14, s15
	s_mul_hi_u32 s16, s3, s12
	s_addc_u32 s13, s13, s17
	s_addc_u32 s14, s16, 0
	s_mul_i32 s12, s3, s12
	s_add_u32 s12, s13, s12
	s_addc_u32 s13, 0, s14
	s_add_u32 s14, s12, 1
	s_addc_u32 s15, s13, 0
	s_add_u32 s16, s12, 2
	s_mul_i32 s18, s58, s13
	s_mul_hi_u32 s19, s58, s12
	s_addc_u32 s17, s13, 0
	s_add_i32 s19, s19, s18
	s_mul_i32 s18, s58, s12
	v_mov_b32_e32 v1, s18
	v_sub_co_u32_e32 v1, vcc, s2, v1
	s_cmp_lg_u64 vcc, 0
	s_subb_u32 s2, s3, s19
	v_subrev_co_u32_e32 v4, vcc, s58, v1
	s_cmp_lg_u64 vcc, 0
	s_subb_u32 s3, s2, 0
	v_readfirstlane_b32 s18, v4
	s_cmp_ge_u32 s18, s58
	s_cselect_b32 s18, -1, 0
	s_cmp_eq_u32 s3, 0
	s_cselect_b32 s3, s18, -1
	s_cmp_lg_u32 s3, 0
	s_cselect_b32 s3, s17, s15
	v_readfirstlane_b32 s15, v1
	s_cselect_b32 s14, s16, s14
	s_cmp_ge_u32 s15, s58
	s_cselect_b32 s15, -1, 0
	s_cmp_eq_u32 s2, 0
	s_cselect_b32 s2, s15, -1
	s_cmp_lg_u32 s2, 0
	s_cselect_b32 s3, s3, s13
	s_cselect_b32 s2, s14, s12
	s_xor_b64 s[2:3], s[2:3], s[10:11]
	s_sub_u32 s2, s2, s10
	s_subb_u32 s3, s3, s10
	s_cbranch_execnz .LBB5_5
.LBB5_4:
	v_cvt_f32_u32_e32 v1, s58
	s_sub_i32 s0, 0, s58
	s_mov_b32 s3, 0
	v_rcp_iflag_f32_e32 v1, v1
	v_mul_f32_e32 v1, 0x4f7ffffe, v1
	v_cvt_u32_f32_e32 v1, v1
	v_readfirstlane_b32 s1, v1
	s_mul_i32 s0, s0, s1
	s_mul_hi_u32 s0, s1, s0
	s_add_i32 s1, s1, s0
	s_mul_hi_u32 s0, s9, s1
	s_mul_i32 s2, s0, s58
	s_sub_i32 s2, s9, s2
	s_add_i32 s1, s0, 1
	s_sub_i32 s9, s2, s58
	s_cmp_ge_u32 s2, s58
	s_cselect_b32 s0, s1, s0
	s_cselect_b32 s2, s9, s2
	s_add_i32 s1, s0, 1
	s_cmp_ge_u32 s2, s58
	s_cselect_b32 s2, s1, s0
.LBB5_5:
	v_mov_b32_e32 v1, 0
	v_mov_b32_e32 v4, s6
	v_mad_u64_u32 v[12:13], s[0:1], s8, v4, v[0:1]
	s_add_u32 s0, s2, 1
	s_addc_u32 s1, s3, 0
	s_mul_hi_u32 s2, s7, s8
	s_mul_i32 s1, s33, s1
	s_mul_hi_u32 s3, s33, s0
	s_add_i32 s1, s3, s1
	s_mul_i32 s2, s2, s0
	s_add_i32 s1, s1, s2
	s_mul_i32 s0, s33, s0
	s_lshl_b64 s[26:27], s[0:1], 2
	v_cmp_gt_i64_e32 vcc, s[26:27], v[12:13]
	s_and_saveexec_b64 s[0:1], vcc
	s_cbranch_execz .LBB5_82
; %bb.6:
	s_mov_b32 s0, 0x5384540f
	v_mov_b32_e32 v0, v11
	v_add_co_u32_e32 v20, vcc, s0, v10
	s_mov_b32 s0, 0x646e171e
	v_add_co_u32_e32 v21, vcc, s0, v0
	s_mov_b32 s0, 0x1715609d
	;; [unrolled: 2-line block ×6, first 2 shown]
	v_alignbit_b32 v27, v3, v2, 2
	s_mov_b32 s60, 0xd2511f53
	v_add_co_u32_e32 v26, vcc, s0, v10
	v_mad_u64_u32 v[4:5], s[0:1], v27, s60, 0
	v_xor_b32_e32 v1, v5, v11
	v_xor_b32_e32 v1, v1, v13
	s_mov_b32 s61, 0xcd9e8d57
	v_mad_u64_u32 v[6:7], s[0:1], v1, s61, 0
	v_xor_b32_e32 v1, v26, v7
	v_mad_u64_u32 v[8:9], s[0:1], v12, s61, 0
	v_and_b32_e32 v16, 3, v2
	v_xor_b32_e32 v1, v1, v8
	v_xor_b32_e32 v2, v10, v9
	v_lshrrev_b32_e32 v28, 2, v3
	v_mad_u64_u32 v[14:15], s[0:1], v1, s60, 0
	v_xor_b32_e32 v2, v2, v28
	v_xor_b32_e32 v1, v25, v15
	v_mad_u64_u32 v[2:3], s[0:1], v2, s60, 0
	v_xor_b32_e32 v1, v1, v2
	v_mad_u64_u32 v[8:9], s[0:1], v1, s61, 0
	s_mov_b32 s0, 0xbb67ae85
	v_add_co_u32_e32 v29, vcc, s0, v0
	v_xor_b32_e32 v2, v29, v3
	v_xor_b32_e32 v2, v2, v4
	v_xor_b32_e32 v1, v24, v9
	v_mad_u64_u32 v[2:3], s[0:1], v2, s61, 0
	v_xor_b32_e32 v1, v1, v2
	v_mad_u64_u32 v[4:5], s[0:1], v1, s60, 0
	s_mov_b32 s0, 0x3c6ef372
	v_add_co_u32_e32 v30, vcc, s0, v10
	v_xor_b32_e32 v2, v30, v3
	v_xor_b32_e32 v2, v2, v6
	v_xor_b32_e32 v1, v23, v5
	v_mad_u64_u32 v[2:3], s[0:1], v2, s60, 0
	v_xor_b32_e32 v1, v1, v2
	v_mad_u64_u32 v[6:7], s[0:1], v1, s61, 0
	s_mov_b32 s0, 0x32370b8f
	v_add_co_u32_e32 v31, vcc, s0, v0
	v_xor_b32_e32 v2, v31, v3
	v_xor_b32_e32 v2, v2, v14
	v_xor_b32_e32 v1, v22, v7
	v_mad_u64_u32 v[2:3], s[0:1], v2, s61, 0
	v_xor_b32_e32 v1, v1, v2
	v_mad_u64_u32 v[14:15], s[0:1], v1, s60, 0
	s_mov_b32 s0, 0x78dde6e4
	v_add_co_u32_e32 v32, vcc, s0, v10
	v_xor_b32_e32 v2, v32, v3
	v_xor_b32_e32 v2, v2, v8
	v_xor_b32_e32 v1, v21, v15
	v_mad_u64_u32 v[2:3], s[0:1], v2, s60, 0
	v_xor_b32_e32 v1, v1, v2
	v_mad_u64_u32 v[8:9], s[0:1], v1, s61, 0
	s_mov_b32 s0, 0xa9066899
	v_add_co_u32_e32 v33, vcc, s0, v0
	v_xor_b32_e32 v2, v33, v3
	v_xor_b32_e32 v2, v2, v4
	v_xor_b32_e32 v1, v20, v9
	v_mad_u64_u32 v[2:3], s[0:1], v2, s61, 0
	v_xor_b32_e32 v1, v1, v2
	v_mad_u64_u32 v[38:39], s[0:1], v1, s60, 0
	s_mov_b32 s0, 0xb54cda56
	v_add_co_u32_e32 v34, vcc, s0, v10
	v_xor_b32_e32 v2, v34, v3
	v_add_co_u32_e32 v19, vcc, 0xdb3d7428, v0
	v_xor_b32_e32 v2, v2, v6
	v_xor_b32_e32 v1, v19, v39
	v_mad_u64_u32 v[2:3], s[0:1], v2, s60, 0
	v_xor_b32_e32 v1, v1, v2
	v_mad_u64_u32 v[40:41], s[0:1], v1, s61, 0
	s_mov_b32 s0, 0x1fd5c5a3
	v_add_co_u32_e32 v35, vcc, s0, v0
	v_xor_b32_e32 v0, v35, v3
	v_xor_b32_e32 v0, v0, v14
	s_load_dwordx2 s[46:47], s[4:5], 0xf4
	s_load_dwordx4 s[28:31], s[4:5], 0x138
	v_mad_u64_u32 v[0:1], s[0:1], v0, s61, 0
	s_mov_b32 s0, 0xf1bbcdc8
	v_add_u32_e32 v17, 0x8ff34781, v10
	v_xor_b32_e32 v0, v41, v0
	v_add_co_u32_e32 v36, vcc, s0, v10
	v_xor_b32_e32 v4, v17, v0
	v_xor_b32_e32 v0, v36, v1
	;; [unrolled: 1-line block ×3, first 2 shown]
	s_waitcnt lgkmcnt(0)
	v_cvt_f32_f64_e32 v2, s[30:31]
	v_mad_u64_u32 v[0:1], s[0:1], v0, s60, 0
	v_sub_f32_e32 v3, 1.0, v2
	v_add_u32_e32 v18, 0x96a522ad, v11
	v_xor_b32_e32 v1, v1, v38
	v_mov_b32_e32 v7, v0
	v_add_f32_e32 v0, -1.0, v3
	v_xor_b32_e32 v6, v18, v1
	v_sub_f32_e32 v1, v0, v3
	v_add_f32_e32 v1, 1.0, v1
	v_sub_f32_e64 v0, -v2, v0
	v_add_f32_e32 v8, v0, v1
	v_frexp_mant_f32_e32 v9, v3
	s_mov_b32 s2, 0x3f2aaaab
	v_cvt_f64_f32_e32 v[0:1], v3
	v_frexp_exp_i32_f64_e32 v0, v[0:1]
	v_cmp_gt_f32_e32 vcc, s2, v9
	v_subbrev_co_u32_e32 v0, vcc, 0, v0, vcc
	v_sub_u32_e32 v1, 0, v0
	v_ldexp_f32 v3, v3, v1
	v_ldexp_f32 v1, v8, v1
	v_add_f32_e32 v8, -1.0, v3
	v_add_f32_e32 v15, 1.0, v3
	v_add_f32_e32 v9, 1.0, v8
	v_add_f32_e32 v37, -1.0, v15
	v_sub_f32_e32 v9, v3, v9
	v_sub_f32_e32 v3, v3, v37
	v_add_f32_e32 v9, v1, v9
	v_add_f32_e32 v1, v1, v3
	v_add_f32_e32 v3, v15, v1
	v_rcp_f32_e32 v37, v3
	v_add_f32_e32 v14, v8, v9
	v_sub_f32_e32 v8, v14, v8
	v_sub_f32_e32 v8, v9, v8
	;; [unrolled: 1-line block ×4, first 2 shown]
	v_mul_f32_e32 v9, v14, v37
	v_mul_f32_e32 v15, v3, v9
	v_fma_f32 v38, v9, v3, -v15
	v_fmac_f32_e32 v38, v9, v1
	v_add_f32_e32 v39, v15, v38
	v_mov_b32_e32 v5, v40
	v_sub_f32_e32 v40, v14, v39
	v_sub_f32_e32 v14, v14, v40
	;; [unrolled: 1-line block ×4, first 2 shown]
	v_add_f32_e32 v8, v8, v14
	v_sub_f32_e32 v14, v15, v38
	v_add_f32_e32 v8, v14, v8
	v_add_f32_e32 v14, v40, v8
	v_mul_f32_e32 v15, v37, v14
	v_mul_f32_e32 v38, v3, v15
	v_fma_f32 v3, v15, v3, -v38
	v_fmac_f32_e32 v3, v15, v1
	v_sub_f32_e32 v1, v40, v14
	v_add_f32_e32 v1, v8, v1
	v_add_f32_e32 v8, v38, v3
	v_sub_f32_e32 v39, v14, v8
	v_sub_f32_e32 v14, v14, v39
	;; [unrolled: 1-line block ×4, first 2 shown]
	v_add_f32_e32 v1, v1, v8
	v_sub_f32_e32 v3, v38, v3
	v_add_f32_e32 v1, v3, v1
	v_add_f32_e32 v3, v9, v15
	v_add_f32_e32 v1, v39, v1
	v_sub_f32_e32 v8, v3, v9
	v_mul_f32_e32 v1, v37, v1
	v_sub_f32_e32 v8, v15, v8
	v_add_f32_e32 v1, v8, v1
	v_cvt_f32_i32_e32 v0, v0
	v_add_f32_e32 v8, v3, v1
	v_mul_f32_e32 v9, v8, v8
	v_mov_b32_e32 v14, 0x3ecc95a3
	v_fmac_f32_e32 v14, 0x3e9b6dac, v9
	v_mov_b32_e32 v15, 0x3f2aaada
	v_fmac_f32_e32 v15, v9, v14
	s_mov_b32 s2, 0x3f317218
	v_mul_f32_e32 v14, 0x3f317218, v0
	v_fma_f32 v37, v0, s2, -v14
	v_fmac_f32_e32 v37, 0xb102e308, v0
	v_sub_f32_e32 v0, v8, v3
	v_sub_f32_e32 v0, v1, v0
	v_add_f32_e32 v1, v14, v37
	v_sub_f32_e32 v3, v1, v14
	v_ldexp_f32 v14, v8, 1
	v_mul_f32_e32 v8, v8, v9
	v_mul_f32_e32 v8, v8, v15
	v_add_f32_e32 v9, v14, v8
	v_sub_f32_e32 v14, v9, v14
	v_ldexp_f32 v0, v0, 1
	v_sub_f32_e32 v8, v8, v14
	v_add_f32_e32 v0, v0, v8
	v_add_f32_e32 v8, v9, v0
	v_sub_f32_e32 v9, v8, v9
	v_sub_f32_e32 v0, v0, v9
	v_add_f32_e32 v9, v1, v8
	v_sub_f32_e32 v14, v9, v1
	v_sub_f32_e32 v15, v9, v14
	v_sub_f32_e32 v3, v37, v3
	v_sub_f32_e32 v1, v1, v15
	v_sub_f32_e32 v8, v8, v14
	v_add_f32_e32 v1, v8, v1
	v_add_f32_e32 v8, v3, v0
	v_sub_f32_e32 v14, v8, v3
	v_sub_f32_e32 v15, v8, v14
	;; [unrolled: 1-line block ×4, first 2 shown]
	v_add_f32_e32 v1, v8, v1
	v_add_f32_e32 v0, v0, v3
	;; [unrolled: 1-line block ×3, first 2 shown]
	s_load_dwordx8 s[8:15], s[4:5], 0x30
	v_sub_f32_e32 v8, v3, v9
	v_sub_f32_e32 v1, v1, v8
	v_add_f32_e32 v0, v0, v1
	s_mov_b32 s2, 0xff800000
	v_add_f32_e32 v0, v3, v0
	v_cmp_eq_f32_e32 vcc, s2, v2
	s_add_u32 s34, s4, 48
	v_cndmask_b32_e64 v0, v0, -v2, vcc
	v_mov_b32_e32 v1, 0x7fc00000
	v_cmp_nlt_f32_e32 vcc, 1.0, v2
	s_addc_u32 s35, s5, 0
	s_waitcnt lgkmcnt(0)
	s_add_i32 s0, s8, -1
	v_cndmask_b32_e32 v0, v1, v0, vcc
	v_mov_b32_e32 v1, 0xff800000
	v_cmp_neq_f32_e32 vcc, 1.0, v2
	s_cmp_gt_u32 s0, 1
	v_cndmask_b32_e32 v0, v1, v0, vcc
	v_log_f32_e32 v1, s0
	s_cselect_b64 s[40:41], -1, 0
	s_cmp_lg_u32 s8, 0
	s_cselect_b64 s[42:43], -1, 0
	s_add_u32 s44, s4, 0xf4
	s_mov_b32 s2, 0x33800000
	s_addc_u32 s45, s5, 0
	s_min_u32 s1, s0, 15
	v_cmp_lt_f32_e64 s[2:3], |v2|, s2
	s_cmp_gt_u32 s8, 1
	v_cndmask_b32_e64 v37, v0, -v2, s[2:3]
	s_mov_b32 s8, 0x3f317217
	v_mul_f32_e32 v0, 0x3f317217, v1
	v_fma_f32 v2, v1, s8, -v0
	v_fmac_f32_e32 v2, 0x3377d1cf, v1
	s_mov_b32 s15, 0x7f800000
	v_add_f32_e32 v0, v0, v2
	v_cmp_lt_f32_e64 vcc, |v1|, s15
	v_cndmask_b32_e32 v0, v1, v0, vcc
	v_div_scale_f32 v1, s[2:3], v37, v37, v0
	v_rcp_f32_e32 v2, v1
	s_cselect_b64 s[48:49], -1, 0
	s_add_i32 s1, s1, 1
	s_lshl_b32 s62, s33, 1
	v_fma_f32 v3, -v1, v2, 1.0
	v_fmac_f32_e32 v2, v3, v2
	v_div_scale_f32 v3, vcc, v0, v37, v0
	v_mul_f32_e32 v8, v3, v2
	v_fma_f32 v9, -v1, v8, v3
	v_fmac_f32_e32 v8, v9, v2
	v_fma_f32 v1, -v1, v8, v3
	v_div_fmas_f32 v1, v1, v2, v8
	v_div_fixup_f32 v0, v1, v37, v0
	v_ceil_f32_e32 v0, v0
	s_and_b32 s66, s1, 3
	v_cvt_i32_f32_e32 v38, v0
	s_cmp_lg_u32 s0, 2
	s_cselect_b64 s[30:31], -1, 0
	s_and_b32 s67, s1, 28
	s_mov_b32 s59, 0
	s_cmp_lg_u32 s66, 0
	s_mov_b32 s63, s59
	s_mul_i32 s64, s33, 3
	s_mov_b32 s65, s59
	s_mov_b64 s[50:51], 0
	s_cselect_b64 s[52:53], -1, 0
	s_mov_b32 s68, 0x800000
	v_mov_b32_e32 v39, 0x4f800000
	v_mov_b32_e32 v40, 0x41b17218
	v_mov_b32_e32 v41, v12
	v_mov_b32_e32 v42, v13
	s_branch .LBB5_9
.LBB5_7:                                ;   in Loop: Header=BB5_9 Depth=1
	global_store_byte v6, v38, s[28:29]
.LBB5_8:                                ;   in Loop: Header=BB5_9 Depth=1
	s_or_b64 exec, exec, s[36:37]
	v_add_co_u32_e32 v12, vcc, s58, v12
	v_mov_b32_e32 v3, v14
	v_addc_co_u32_e32 v13, vcc, 0, v13, vcc
	v_cmp_le_i64_e32 vcc, s[26:27], v[12:13]
	v_pk_mov_b32 v[6:7], v[2:3], v[2:3] op_sel:[0,1]
	s_or_b64 s[50:51], vcc, s[50:51]
	v_pk_mov_b32 v[4:5], v[0:1], v[0:1] op_sel:[0,1]
	s_barrier
	s_andn2_b64 exec, exec, s[50:51]
	s_cbranch_execz .LBB5_82
.LBB5_9:                                ; =>This Loop Header: Depth=1
                                        ;     Child Loop BB5_24 Depth 2
                                        ;     Child Loop BB5_30 Depth 2
	;; [unrolled: 1-line block ×8, first 2 shown]
	v_add_co_u32_e32 v27, vcc, 1, v27
	v_cndmask_b32_e64 v0, 0, 1, vcc
	v_addc_co_u32_e32 v28, vcc, 0, v28, vcc
	v_cmp_eq_u32_e32 vcc, 0, v28
	v_cndmask_b32_e32 v0, 0, v0, vcc
	v_add_u32_e32 v41, v0, v41
	v_cmp_eq_u32_e32 vcc, 0, v41
	v_cndmask_b32_e32 v0, 0, v0, vcc
	v_add_u32_e32 v42, v0, v42
	v_mad_u64_u32 v[0:1], s[0:1], v27, s60, 0
	v_mad_u64_u32 v[2:3], s[0:1], v41, s61, 0
	v_xor_b32_e32 v1, v1, v11
	v_xor_b32_e32 v3, v3, v10
	v_xor_b32_e32 v1, v42, v1
	v_xor_b32_e32 v3, v28, v3
	v_mad_u64_u32 v[14:15], s[0:1], v1, s61, 0
	v_mad_u64_u32 v[8:9], s[0:1], v3, s60, 0
	v_xor_b32_e32 v1, v26, v15
	v_xor_b32_e32 v1, v1, v2
	v_xor_b32_e32 v2, v29, v9
	v_xor_b32_e32 v2, v2, v0
	v_mad_u64_u32 v[0:1], s[0:1], v1, s60, 0
	v_mad_u64_u32 v[2:3], s[0:1], v2, s61, 0
	v_xor_b32_e32 v1, v25, v1
	v_xor_b32_e32 v3, v30, v3
	v_xor_b32_e32 v1, v1, v8
	v_xor_b32_e32 v3, v3, v14
	v_mad_u64_u32 v[14:15], s[0:1], v1, s61, 0
	v_mad_u64_u32 v[8:9], s[0:1], v3, s60, 0
	v_xor_b32_e32 v1, v24, v15
	v_xor_b32_e32 v1, v1, v2
	v_xor_b32_e32 v2, v31, v9
	v_xor_b32_e32 v2, v2, v0
	v_mad_u64_u32 v[0:1], s[0:1], v1, s60, 0
	v_mad_u64_u32 v[2:3], s[0:1], v2, s61, 0
	v_xor_b32_e32 v1, v23, v1
	v_xor_b32_e32 v3, v32, v3
	v_xor_b32_e32 v1, v1, v8
	v_xor_b32_e32 v3, v3, v14
	v_mad_u64_u32 v[14:15], s[0:1], v1, s61, 0
	v_mad_u64_u32 v[8:9], s[0:1], v3, s60, 0
	v_xor_b32_e32 v1, v22, v15
	v_xor_b32_e32 v1, v1, v2
	v_xor_b32_e32 v2, v33, v9
	v_xor_b32_e32 v2, v2, v0
	v_mad_u64_u32 v[0:1], s[0:1], v1, s60, 0
	v_mad_u64_u32 v[2:3], s[0:1], v2, s61, 0
	v_xor_b32_e32 v1, v21, v1
	v_xor_b32_e32 v3, v34, v3
	v_xor_b32_e32 v1, v1, v8
	v_xor_b32_e32 v3, v3, v14
	v_mad_u64_u32 v[14:15], s[0:1], v1, s61, 0
	v_mad_u64_u32 v[8:9], s[0:1], v3, s60, 0
	v_xor_b32_e32 v1, v20, v15
	v_xor_b32_e32 v1, v1, v2
	v_xor_b32_e32 v2, v35, v9
	v_xor_b32_e32 v0, v2, v0
	v_mad_u64_u32 v[2:3], s[0:1], v1, s60, 0
	v_mad_u64_u32 v[0:1], s[0:1], v0, s61, 0
	v_xor_b32_e32 v1, v36, v1
	v_xor_b32_e32 v1, v1, v14
	v_xor_b32_e32 v3, v19, v3
	v_xor_b32_e32 v3, v3, v8
	v_mad_u64_u32 v[14:15], s[0:1], v1, s60, 0
	v_mad_u64_u32 v[8:9], s[0:1], v3, s61, 0
	v_xor_b32_e32 v1, v15, v2
	v_xor_b32_e32 v0, v9, v0
	v_xor_b32_e32 v9, v18, v1
	v_xor_b32_e32 v0, v17, v0
	v_mov_b32_e32 v1, v8
	v_mov_b32_e32 v2, v9
	v_cmp_lt_i32_e32 vcc, 1, v16
	s_and_saveexec_b64 s[0:1], vcc
	s_xor_b64 s[0:1], exec, s[0:1]
	s_cbranch_execz .LBB5_15
; %bb.10:                               ;   in Loop: Header=BB5_9 Depth=1
	v_cmp_lt_i32_e32 vcc, 2, v16
	s_and_saveexec_b64 s[2:3], vcc
	s_xor_b64 s[2:3], exec, s[2:3]
; %bb.11:                               ;   in Loop: Header=BB5_9 Depth=1
	v_mov_b32_e32 v6, v7
	v_mov_b32_e32 v7, v0
	v_pk_mov_b32 v[4:5], v[6:7], v[6:7] op_sel:[0,1]
	v_pk_mov_b32 v[6:7], v[8:9], v[8:9] op_sel:[0,1]
                                        ; implicit-def: $vgpr8_vgpr9
; %bb.12:                               ;   in Loop: Header=BB5_9 Depth=1
	s_andn2_saveexec_b64 s[2:3], s[2:3]
; %bb.13:                               ;   in Loop: Header=BB5_9 Depth=1
	v_mov_b32_e32 v4, v6
	v_mov_b32_e32 v5, v7
	;; [unrolled: 1-line block ×4, first 2 shown]
; %bb.14:                               ;   in Loop: Header=BB5_9 Depth=1
	s_or_b64 exec, exec, s[2:3]
.LBB5_15:                               ;   in Loop: Header=BB5_9 Depth=1
	s_andn2_saveexec_b64 s[0:1], s[0:1]
	s_cbranch_execz .LBB5_19
; %bb.16:                               ;   in Loop: Header=BB5_9 Depth=1
	v_cmp_eq_u32_e32 vcc, 1, v16
	s_and_saveexec_b64 s[2:3], vcc
; %bb.17:                               ;   in Loop: Header=BB5_9 Depth=1
	v_mov_b32_e32 v4, v5
	v_mov_b32_e32 v5, v6
	;; [unrolled: 1-line block ×4, first 2 shown]
; %bb.18:                               ;   in Loop: Header=BB5_9 Depth=1
	s_or_b64 exec, exec, s[2:3]
.LBB5_19:                               ;   in Loop: Header=BB5_9 Depth=1
	s_or_b64 exec, exec, s[0:1]
	v_cndmask_b32_e64 v3, 0, 1, s[40:41]
	v_cmp_gt_i64_e32 vcc, s[24:25], v[12:13]
	v_cmp_ne_u32_e64 s[0:1], 1, v3
	s_and_saveexec_b64 s[54:55], vcc
	s_cbranch_execz .LBB5_35
; %bb.20:                               ;   in Loop: Header=BB5_9 Depth=1
	s_and_b64 vcc, exec, s[0:1]
	s_cbranch_vccnz .LBB5_26
; %bb.21:                               ;   in Loop: Header=BB5_9 Depth=1
	s_andn2_b64 vcc, exec, s[42:43]
	s_cbranch_vccnz .LBB5_27
; %bb.22:                               ;   in Loop: Header=BB5_9 Depth=1
	s_mov_b32 s4, 0
	s_andn2_b64 vcc, exec, s[30:31]
	v_mov_b32_e32 v8, 0
	s_cbranch_vccnz .LBB5_28
; %bb.23:                               ;   in Loop: Header=BB5_9 Depth=1
	s_mov_b32 s69, 0
	v_mov_b32_e32 v8, 0
	s_mov_b64 s[2:3], s[34:35]
	s_mov_b64 s[56:57], s[44:45]
	v_mov_b32_e32 v3, v12
.LBB5_24:                               ;   Parent Loop BB5_9 Depth=1
                                        ; =>  This Inner Loop Header: Depth=2
	s_load_dwordx8 s[16:23], s[2:3], 0x4
	s_load_dwordx4 s[4:7], s[2:3], 0x24
	s_load_dwordx4 s[36:39], s[56:57], 0x0
	s_add_u32 s2, s2, 48
	s_addc_u32 s3, s3, 0
	s_waitcnt lgkmcnt(0)
	v_mul_hi_u32 v9, s17, v3
	v_add_u32_e32 v9, v3, v9
	v_lshrrev_b32_e32 v9, s18, v9
	v_mul_lo_u32 v15, v9, s16
	v_mul_hi_u32 v43, s20, v9
	v_sub_u32_e32 v3, v3, v15
	v_add_u32_e32 v15, v9, v43
	v_lshrrev_b32_e32 v15, s21, v15
	v_mul_lo_u32 v43, v15, s19
	v_mul_hi_u32 v44, s23, v15
	v_sub_u32_e32 v9, v9, v43
	v_add_u32_e32 v43, v15, v44
	v_mul_lo_u32 v3, v3, s36
	v_mul_lo_u32 v9, v9, s37
	v_lshrrev_b32_e32 v43, s4, v43
	v_add3_u32 v8, v3, v8, v9
	v_mul_lo_u32 v3, v43, s22
	v_mul_hi_u32 v9, s6, v43
	v_sub_u32_e32 v3, v15, v3
	v_add_u32_e32 v9, v43, v9
	v_mul_lo_u32 v15, v3, s38
	v_lshrrev_b32_e32 v3, s7, v9
	s_add_i32 s69, s69, 4
	v_mul_lo_u32 v9, v3, s5
	s_add_u32 s56, s56, 16
	v_sub_u32_e32 v9, v43, v9
	s_addc_u32 s57, s57, 0
	v_mul_lo_u32 v9, v9, s39
	s_cmp_lg_u32 s67, s69
	v_add3_u32 v8, v15, v8, v9
	s_cbranch_scc1 .LBB5_24
; %bb.25:                               ;   in Loop: Header=BB5_9 Depth=1
	s_mov_b32 s4, s67
	s_andn2_b64 vcc, exec, s[52:53]
	s_cbranch_vccz .LBB5_29
	s_branch .LBB5_31
.LBB5_26:                               ;   in Loop: Header=BB5_9 Depth=1
                                        ; implicit-def: $vgpr8
	s_branch .LBB5_32
.LBB5_27:                               ;   in Loop: Header=BB5_9 Depth=1
	v_mov_b32_e32 v8, 0
	s_branch .LBB5_31
.LBB5_28:                               ;   in Loop: Header=BB5_9 Depth=1
	v_mov_b32_e32 v3, v12
	s_andn2_b64 vcc, exec, s[52:53]
	s_cbranch_vccnz .LBB5_31
.LBB5_29:                               ;   in Loop: Header=BB5_9 Depth=1
	s_lshl_b32 s2, s4, 2
	s_add_u32 s2, s44, s2
	s_addc_u32 s3, s45, 0
	s_mul_i32 s4, s4, 12
	s_add_u32 s4, s34, s4
	s_addc_u32 s5, s35, 0
	s_mov_b32 s6, s66
.LBB5_30:                               ;   Parent Loop BB5_9 Depth=1
                                        ; =>  This Inner Loop Header: Depth=2
	s_load_dwordx2 s[16:17], s[4:5], 0x4
	s_load_dword s7, s[4:5], 0xc
	s_load_dword s18, s[2:3], 0x0
	s_add_u32 s4, s4, 12
	s_addc_u32 s5, s5, 0
	s_waitcnt lgkmcnt(0)
	v_mul_hi_u32 v9, s17, v3
	v_add_u32_e32 v9, v3, v9
	v_lshrrev_b32_e32 v9, s7, v9
	s_add_u32 s2, s2, 4
	v_mul_lo_u32 v15, v9, s16
	s_addc_u32 s3, s3, 0
	s_add_i32 s6, s6, -1
	v_sub_u32_e32 v15, v3, v15
	s_cmp_lg_u32 s6, 0
	v_mov_b32_e32 v3, v9
	v_mad_u64_u32 v[8:9], s[16:17], v15, s18, v[8:9]
	s_cbranch_scc1 .LBB5_30
.LBB5_31:                               ;   in Loop: Header=BB5_9 Depth=1
	s_cbranch_execnz .LBB5_34
.LBB5_32:                               ;   in Loop: Header=BB5_9 Depth=1
	v_mul_hi_u32 v3, v12, s10
	v_add_u32_e32 v3, v3, v12
	v_lshrrev_b32_e32 v3, s11, v3
	v_mul_lo_u32 v8, v3, s9
	v_sub_u32_e32 v8, v12, v8
	s_andn2_b64 vcc, exec, s[48:49]
	v_mul_lo_u32 v8, v8, s46
	s_cbranch_vccnz .LBB5_34
; %bb.33:                               ;   in Loop: Header=BB5_9 Depth=1
	v_mul_hi_u32 v9, s13, v3
	v_add_u32_e32 v9, v3, v9
	v_lshrrev_b32_e32 v9, s14, v9
	v_mul_lo_u32 v9, v9, s12
	v_sub_u32_e32 v3, v3, v9
	v_mad_u64_u32 v[8:9], s[2:3], v3, s47, v[8:9]
.LBB5_34:                               ;   in Loop: Header=BB5_9 Depth=1
	v_lshrrev_b32_e32 v3, 11, v5
	v_cvt_f64_u32_e32 v[44:45], v3
	v_ldexp_f64 v[44:45], v[44:45], 32
	v_cvt_f64_u32_e32 v[4:5], v4
	v_add_f64 v[4:5], v[44:45], v[4:5]
	v_mov_b32_e32 v44, 0
	v_mov_b32_e32 v45, 0x3ca00000
	v_fmac_f64_e32 v[44:45], 0x3ca00000, v[4:5]
	v_cvt_f32_f64_e32 v3, v[44:45]
	v_cmp_gt_f32_e32 vcc, s68, v3
	v_cndmask_b32_e32 v4, 1.0, v39, vcc
	v_mul_f32_e32 v3, v3, v4
	v_log_f32_e32 v3, v3
	v_mul_f32_e32 v4, 0x3f317217, v3
	v_fma_f32 v5, v3, s8, -v4
	v_fmac_f32_e32 v5, 0x3377d1cf, v3
	v_add_f32_e32 v4, v4, v5
	v_cmp_lt_f32_e64 s[2:3], |v3|, s15
	v_cndmask_b32_e64 v3, v3, v4, s[2:3]
	v_cndmask_b32_e32 v4, 0, v40, vcc
	v_sub_f32_e32 v3, v3, v4
	v_div_scale_f32 v4, s[2:3], v37, v37, v3
	v_rcp_f32_e32 v5, v4
	v_fma_f32 v9, -v4, v5, 1.0
	v_fmac_f32_e32 v5, v9, v5
	v_div_scale_f32 v9, vcc, v3, v37, v3
	v_mul_f32_e32 v15, v9, v5
	v_fma_f32 v43, -v4, v15, v9
	v_fmac_f32_e32 v15, v43, v5
	v_fma_f32 v4, -v4, v15, v9
	v_div_fmas_f32 v4, v4, v5, v15
	v_div_fixup_f32 v3, v4, v37, v3
	v_ceil_f32_e32 v3, v3
	v_cvt_i32_f32_e32 v3, v3
	global_store_byte v8, v3, s[28:29]
.LBB5_35:                               ;   in Loop: Header=BB5_9 Depth=1
	s_or_b64 exec, exec, s[54:55]
	v_mov_b32_e32 v3, s59
	v_add_co_u32_e32 v8, vcc, s33, v12
	v_addc_co_u32_e32 v9, vcc, v13, v3, vcc
	v_cmp_gt_i64_e32 vcc, s[24:25], v[8:9]
	s_and_saveexec_b64 s[54:55], vcc
	s_cbranch_execz .LBB5_51
; %bb.36:                               ;   in Loop: Header=BB5_9 Depth=1
	s_and_b64 vcc, exec, s[0:1]
	s_cbranch_vccnz .LBB5_42
; %bb.37:                               ;   in Loop: Header=BB5_9 Depth=1
	s_andn2_b64 vcc, exec, s[42:43]
	s_cbranch_vccnz .LBB5_43
; %bb.38:                               ;   in Loop: Header=BB5_9 Depth=1
	s_mov_b32 s4, 0
	s_andn2_b64 vcc, exec, s[30:31]
	v_mov_b32_e32 v4, 0
	s_cbranch_vccnz .LBB5_44
; %bb.39:                               ;   in Loop: Header=BB5_9 Depth=1
	s_mov_b32 s69, 0
	v_mov_b32_e32 v4, 0
	s_mov_b64 s[2:3], s[34:35]
	s_mov_b64 s[56:57], s[44:45]
	v_mov_b32_e32 v3, v8
.LBB5_40:                               ;   Parent Loop BB5_9 Depth=1
                                        ; =>  This Inner Loop Header: Depth=2
	s_load_dwordx8 s[16:23], s[2:3], 0x4
	s_load_dwordx4 s[4:7], s[2:3], 0x24
	s_load_dwordx4 s[36:39], s[56:57], 0x0
	s_add_u32 s2, s2, 48
	s_addc_u32 s3, s3, 0
	s_waitcnt lgkmcnt(0)
	v_mul_hi_u32 v5, s17, v3
	v_add_u32_e32 v5, v3, v5
	v_lshrrev_b32_e32 v5, s18, v5
	v_mul_lo_u32 v9, v5, s16
	v_mul_hi_u32 v15, s20, v5
	v_sub_u32_e32 v3, v3, v9
	v_add_u32_e32 v9, v5, v15
	v_lshrrev_b32_e32 v9, s21, v9
	v_mul_lo_u32 v15, v9, s19
	v_mul_hi_u32 v43, s23, v9
	v_sub_u32_e32 v5, v5, v15
	v_add_u32_e32 v15, v9, v43
	v_mul_lo_u32 v3, v3, s36
	v_mul_lo_u32 v5, v5, s37
	v_lshrrev_b32_e32 v15, s4, v15
	v_add3_u32 v4, v3, v4, v5
	v_mul_lo_u32 v3, v15, s22
	v_mul_hi_u32 v5, s6, v15
	v_sub_u32_e32 v3, v9, v3
	v_add_u32_e32 v5, v15, v5
	v_mul_lo_u32 v9, v3, s38
	v_lshrrev_b32_e32 v3, s7, v5
	s_add_i32 s69, s69, 4
	v_mul_lo_u32 v5, v3, s5
	s_add_u32 s56, s56, 16
	v_sub_u32_e32 v5, v15, v5
	s_addc_u32 s57, s57, 0
	v_mul_lo_u32 v5, v5, s39
	s_cmp_eq_u32 s67, s69
	v_add3_u32 v4, v9, v4, v5
	s_cbranch_scc0 .LBB5_40
; %bb.41:                               ;   in Loop: Header=BB5_9 Depth=1
	s_mov_b32 s4, s67
	s_andn2_b64 vcc, exec, s[52:53]
	s_cbranch_vccz .LBB5_45
	s_branch .LBB5_47
.LBB5_42:                               ;   in Loop: Header=BB5_9 Depth=1
                                        ; implicit-def: $vgpr4
	s_branch .LBB5_48
.LBB5_43:                               ;   in Loop: Header=BB5_9 Depth=1
	v_mov_b32_e32 v4, 0
	s_branch .LBB5_47
.LBB5_44:                               ;   in Loop: Header=BB5_9 Depth=1
	v_mov_b32_e32 v3, v8
	s_andn2_b64 vcc, exec, s[52:53]
	s_cbranch_vccnz .LBB5_47
.LBB5_45:                               ;   in Loop: Header=BB5_9 Depth=1
	s_lshl_b32 s2, s4, 2
	s_add_u32 s2, s44, s2
	s_addc_u32 s3, s45, 0
	s_mul_i32 s4, s4, 12
	s_add_u32 s4, s34, s4
	s_addc_u32 s5, s35, 0
	s_mov_b32 s6, s66
.LBB5_46:                               ;   Parent Loop BB5_9 Depth=1
                                        ; =>  This Inner Loop Header: Depth=2
	s_load_dwordx2 s[16:17], s[4:5], 0x4
	s_load_dword s7, s[4:5], 0xc
	s_load_dword s18, s[2:3], 0x0
	s_add_u32 s4, s4, 12
	s_addc_u32 s5, s5, 0
	s_waitcnt lgkmcnt(0)
	v_mul_hi_u32 v5, s17, v3
	v_add_u32_e32 v5, v3, v5
	v_lshrrev_b32_e32 v5, s7, v5
	s_add_u32 s2, s2, 4
	v_mul_lo_u32 v9, v5, s16
	s_addc_u32 s3, s3, 0
	s_add_i32 s6, s6, -1
	v_sub_u32_e32 v9, v3, v9
	s_cmp_lg_u32 s6, 0
	v_mov_b32_e32 v3, v5
	v_mad_u64_u32 v[4:5], s[16:17], v9, s18, v[4:5]
	s_cbranch_scc1 .LBB5_46
.LBB5_47:                               ;   in Loop: Header=BB5_9 Depth=1
	s_cbranch_execnz .LBB5_50
.LBB5_48:                               ;   in Loop: Header=BB5_9 Depth=1
	v_mul_hi_u32 v3, v8, s10
	v_add_u32_e32 v3, v3, v8
	v_lshrrev_b32_e32 v3, s11, v3
	v_mul_lo_u32 v4, v3, s9
	v_sub_u32_e32 v4, v8, v4
	s_andn2_b64 vcc, exec, s[48:49]
	v_mul_lo_u32 v4, v4, s46
	s_cbranch_vccnz .LBB5_50
; %bb.49:                               ;   in Loop: Header=BB5_9 Depth=1
	v_mul_hi_u32 v5, s13, v3
	v_add_u32_e32 v5, v3, v5
	v_lshrrev_b32_e32 v5, s14, v5
	v_mul_lo_u32 v5, v5, s12
	v_sub_u32_e32 v3, v3, v5
	v_mad_u64_u32 v[4:5], s[2:3], v3, s47, v[4:5]
.LBB5_50:                               ;   in Loop: Header=BB5_9 Depth=1
	v_lshrrev_b32_e32 v3, 11, v7
	v_cvt_f64_u32_e32 v[8:9], v3
	v_ldexp_f64 v[8:9], v[8:9], 32
	v_cvt_f64_u32_e32 v[6:7], v6
	v_add_f64 v[6:7], v[8:9], v[6:7]
	v_mov_b32_e32 v8, 0
	v_mov_b32_e32 v9, 0x3ca00000
	v_fmac_f64_e32 v[8:9], 0x3ca00000, v[6:7]
	v_cvt_f32_f64_e32 v3, v[8:9]
	v_cmp_gt_f32_e32 vcc, s68, v3
	v_cndmask_b32_e32 v5, 1.0, v39, vcc
	v_mul_f32_e32 v3, v3, v5
	v_log_f32_e32 v3, v3
	v_mul_f32_e32 v5, 0x3f317217, v3
	v_fma_f32 v6, v3, s8, -v5
	v_fmac_f32_e32 v6, 0x3377d1cf, v3
	v_add_f32_e32 v5, v5, v6
	v_cmp_lt_f32_e64 s[2:3], |v3|, s15
	v_cndmask_b32_e64 v3, v3, v5, s[2:3]
	v_cndmask_b32_e32 v5, 0, v40, vcc
	v_sub_f32_e32 v3, v3, v5
	v_div_scale_f32 v5, s[2:3], v37, v37, v3
	v_rcp_f32_e32 v6, v5
	v_fma_f32 v7, -v5, v6, 1.0
	v_fmac_f32_e32 v6, v7, v6
	v_div_scale_f32 v7, vcc, v3, v37, v3
	v_mul_f32_e32 v8, v7, v6
	v_fma_f32 v9, -v5, v8, v7
	v_fmac_f32_e32 v8, v9, v6
	v_fma_f32 v5, -v5, v8, v7
	v_div_fmas_f32 v5, v5, v6, v8
	v_div_fixup_f32 v3, v5, v37, v3
	v_ceil_f32_e32 v3, v3
	v_cvt_i32_f32_e32 v3, v3
	global_store_byte v4, v3, s[28:29]
.LBB5_51:                               ;   in Loop: Header=BB5_9 Depth=1
	s_or_b64 exec, exec, s[54:55]
	v_mov_b32_e32 v3, s63
	v_add_co_u32_e32 v4, vcc, s62, v12
	v_addc_co_u32_e32 v5, vcc, v13, v3, vcc
	v_cmp_gt_i64_e32 vcc, s[24:25], v[4:5]
	s_and_saveexec_b64 s[2:3], vcc
	s_cbranch_execz .LBB5_67
; %bb.52:                               ;   in Loop: Header=BB5_9 Depth=1
	s_and_b64 vcc, exec, s[0:1]
	s_cbranch_vccnz .LBB5_58
; %bb.53:                               ;   in Loop: Header=BB5_9 Depth=1
	s_andn2_b64 vcc, exec, s[42:43]
	s_cbranch_vccnz .LBB5_59
; %bb.54:                               ;   in Loop: Header=BB5_9 Depth=1
	s_mov_b32 s6, 0
	s_andn2_b64 vcc, exec, s[30:31]
	v_mov_b32_e32 v6, 0
	s_cbranch_vccnz .LBB5_60
; %bb.55:                               ;   in Loop: Header=BB5_9 Depth=1
	s_mov_b32 s69, 0
	v_mov_b32_e32 v6, 0
	s_mov_b64 s[54:55], s[34:35]
	s_mov_b64 s[56:57], s[44:45]
	v_mov_b32_e32 v3, v4
.LBB5_56:                               ;   Parent Loop BB5_9 Depth=1
                                        ; =>  This Inner Loop Header: Depth=2
	s_load_dwordx8 s[16:23], s[54:55], 0x4
	s_load_dwordx4 s[4:7], s[54:55], 0x24
	s_load_dwordx4 s[36:39], s[56:57], 0x0
	s_add_u32 s54, s54, 48
	s_addc_u32 s55, s55, 0
	s_waitcnt lgkmcnt(0)
	v_mul_hi_u32 v5, s17, v3
	v_add_u32_e32 v5, v3, v5
	v_lshrrev_b32_e32 v5, s18, v5
	v_mul_lo_u32 v7, v5, s16
	v_mul_hi_u32 v8, s20, v5
	v_sub_u32_e32 v3, v3, v7
	v_add_u32_e32 v7, v5, v8
	v_lshrrev_b32_e32 v7, s21, v7
	v_mul_lo_u32 v8, v7, s19
	v_mul_hi_u32 v9, s23, v7
	v_sub_u32_e32 v5, v5, v8
	v_add_u32_e32 v8, v7, v9
	v_mul_lo_u32 v3, v3, s36
	v_mul_lo_u32 v5, v5, s37
	v_lshrrev_b32_e32 v8, s4, v8
	v_add3_u32 v5, v3, v6, v5
	v_mul_lo_u32 v3, v8, s22
	v_mul_hi_u32 v6, s6, v8
	v_sub_u32_e32 v3, v7, v3
	v_add_u32_e32 v6, v8, v6
	v_mul_lo_u32 v7, v3, s38
	v_lshrrev_b32_e32 v3, s7, v6
	s_add_i32 s69, s69, 4
	v_mul_lo_u32 v6, v3, s5
	s_add_u32 s56, s56, 16
	v_sub_u32_e32 v6, v8, v6
	s_addc_u32 s57, s57, 0
	v_mul_lo_u32 v6, v6, s39
	s_cmp_eq_u32 s67, s69
	v_add3_u32 v6, v7, v5, v6
	s_cbranch_scc0 .LBB5_56
; %bb.57:                               ;   in Loop: Header=BB5_9 Depth=1
	s_mov_b32 s6, s67
	s_andn2_b64 vcc, exec, s[52:53]
	s_cbranch_vccz .LBB5_61
	s_branch .LBB5_63
.LBB5_58:                               ;   in Loop: Header=BB5_9 Depth=1
                                        ; implicit-def: $vgpr6
	s_branch .LBB5_64
.LBB5_59:                               ;   in Loop: Header=BB5_9 Depth=1
	v_mov_b32_e32 v6, 0
	s_branch .LBB5_63
.LBB5_60:                               ;   in Loop: Header=BB5_9 Depth=1
	v_mov_b32_e32 v3, v4
	s_andn2_b64 vcc, exec, s[52:53]
	s_cbranch_vccnz .LBB5_63
.LBB5_61:                               ;   in Loop: Header=BB5_9 Depth=1
	s_lshl_b32 s4, s6, 2
	s_add_u32 s4, s44, s4
	s_addc_u32 s5, s45, 0
	s_mul_i32 s6, s6, 12
	s_add_u32 s6, s34, s6
	s_addc_u32 s7, s35, 0
	s_mov_b32 s16, s66
.LBB5_62:                               ;   Parent Loop BB5_9 Depth=1
                                        ; =>  This Inner Loop Header: Depth=2
	s_load_dwordx2 s[18:19], s[6:7], 0x4
	s_load_dword s17, s[6:7], 0xc
	s_load_dword s20, s[4:5], 0x0
	s_add_u32 s6, s6, 12
	s_addc_u32 s7, s7, 0
	s_waitcnt lgkmcnt(0)
	v_mul_hi_u32 v5, s19, v3
	v_add_u32_e32 v5, v3, v5
	v_lshrrev_b32_e32 v5, s17, v5
	s_add_u32 s4, s4, 4
	v_mul_lo_u32 v7, v5, s18
	s_addc_u32 s5, s5, 0
	s_add_i32 s16, s16, -1
	v_sub_u32_e32 v7, v3, v7
	s_cmp_lg_u32 s16, 0
	v_mov_b32_e32 v3, v5
	v_mad_u64_u32 v[6:7], s[18:19], v7, s20, v[6:7]
	s_cbranch_scc1 .LBB5_62
.LBB5_63:                               ;   in Loop: Header=BB5_9 Depth=1
	s_cbranch_execnz .LBB5_66
.LBB5_64:                               ;   in Loop: Header=BB5_9 Depth=1
	v_mul_hi_u32 v3, v4, s10
	v_add_u32_e32 v3, v3, v4
	v_lshrrev_b32_e32 v3, s11, v3
	v_mul_lo_u32 v5, v3, s9
	v_sub_u32_e32 v4, v4, v5
	s_andn2_b64 vcc, exec, s[48:49]
	v_mul_lo_u32 v6, v4, s46
	s_cbranch_vccnz .LBB5_66
; %bb.65:                               ;   in Loop: Header=BB5_9 Depth=1
	v_mul_hi_u32 v4, s13, v3
	v_add_u32_e32 v4, v3, v4
	v_lshrrev_b32_e32 v4, s14, v4
	v_mul_lo_u32 v4, v4, s12
	v_sub_u32_e32 v3, v3, v4
	v_mad_u64_u32 v[6:7], s[4:5], v3, s47, v[6:7]
.LBB5_66:                               ;   in Loop: Header=BB5_9 Depth=1
	global_store_byte v6, v38, s[28:29]
.LBB5_67:                               ;   in Loop: Header=BB5_9 Depth=1
	s_or_b64 exec, exec, s[2:3]
	v_mov_b32_e32 v3, s65
	v_add_co_u32_e32 v4, vcc, s64, v12
	v_addc_co_u32_e32 v5, vcc, v13, v3, vcc
	v_cmp_gt_i64_e32 vcc, s[24:25], v[4:5]
	s_and_saveexec_b64 s[36:37], vcc
	s_cbranch_execz .LBB5_8
; %bb.68:                               ;   in Loop: Header=BB5_9 Depth=1
	s_and_b64 vcc, exec, s[0:1]
	s_cbranch_vccnz .LBB5_74
; %bb.69:                               ;   in Loop: Header=BB5_9 Depth=1
	s_andn2_b64 vcc, exec, s[42:43]
	s_cbranch_vccnz .LBB5_75
; %bb.70:                               ;   in Loop: Header=BB5_9 Depth=1
	s_mov_b32 s2, 0
	s_andn2_b64 vcc, exec, s[30:31]
	v_mov_b32_e32 v6, 0
	s_cbranch_vccnz .LBB5_76
; %bb.71:                               ;   in Loop: Header=BB5_9 Depth=1
	s_mov_b32 s56, 0
	v_mov_b32_e32 v6, 0
	s_mov_b64 s[38:39], s[34:35]
	s_mov_b64 s[54:55], s[44:45]
	v_mov_b32_e32 v3, v4
.LBB5_72:                               ;   Parent Loop BB5_9 Depth=1
                                        ; =>  This Inner Loop Header: Depth=2
	s_load_dwordx8 s[0:7], s[38:39], 0x4
	s_load_dwordx4 s[16:19], s[38:39], 0x24
	s_load_dwordx4 s[20:23], s[54:55], 0x0
	s_add_u32 s38, s38, 48
	s_addc_u32 s39, s39, 0
	s_waitcnt lgkmcnt(0)
	v_mul_hi_u32 v5, s1, v3
	v_add_u32_e32 v5, v3, v5
	v_lshrrev_b32_e32 v5, s2, v5
	v_mul_lo_u32 v7, v5, s0
	v_mul_hi_u32 v8, s4, v5
	v_sub_u32_e32 v3, v3, v7
	v_add_u32_e32 v7, v5, v8
	v_lshrrev_b32_e32 v7, s5, v7
	v_mul_lo_u32 v8, v7, s3
	v_mul_hi_u32 v9, s7, v7
	v_sub_u32_e32 v5, v5, v8
	v_add_u32_e32 v8, v7, v9
	v_mul_lo_u32 v3, v3, s20
	v_mul_lo_u32 v5, v5, s21
	v_lshrrev_b32_e32 v8, s16, v8
	v_add3_u32 v5, v3, v6, v5
	v_mul_lo_u32 v3, v8, s6
	v_mul_hi_u32 v6, s18, v8
	v_sub_u32_e32 v3, v7, v3
	v_add_u32_e32 v6, v8, v6
	v_mul_lo_u32 v7, v3, s22
	v_lshrrev_b32_e32 v3, s19, v6
	s_add_i32 s56, s56, 4
	v_mul_lo_u32 v6, v3, s17
	s_add_u32 s54, s54, 16
	v_sub_u32_e32 v6, v8, v6
	s_addc_u32 s55, s55, 0
	v_mul_lo_u32 v6, v6, s23
	s_cmp_eq_u32 s67, s56
	v_add3_u32 v6, v7, v5, v6
	s_cbranch_scc0 .LBB5_72
; %bb.73:                               ;   in Loop: Header=BB5_9 Depth=1
	s_mov_b32 s2, s67
	s_andn2_b64 vcc, exec, s[52:53]
	s_cbranch_vccz .LBB5_77
	s_branch .LBB5_79
.LBB5_74:                               ;   in Loop: Header=BB5_9 Depth=1
                                        ; implicit-def: $vgpr6
	s_branch .LBB5_80
.LBB5_75:                               ;   in Loop: Header=BB5_9 Depth=1
	v_mov_b32_e32 v6, 0
	s_branch .LBB5_79
.LBB5_76:                               ;   in Loop: Header=BB5_9 Depth=1
	v_mov_b32_e32 v3, v4
	s_andn2_b64 vcc, exec, s[52:53]
	s_cbranch_vccnz .LBB5_79
.LBB5_77:                               ;   in Loop: Header=BB5_9 Depth=1
	s_lshl_b32 s0, s2, 2
	s_add_u32 s0, s44, s0
	s_addc_u32 s1, s45, 0
	s_mul_i32 s2, s2, 12
	s_add_u32 s2, s34, s2
	s_addc_u32 s3, s35, 0
	s_mov_b32 s4, s66
.LBB5_78:                               ;   Parent Loop BB5_9 Depth=1
                                        ; =>  This Inner Loop Header: Depth=2
	s_load_dwordx2 s[6:7], s[2:3], 0x4
	s_load_dword s5, s[2:3], 0xc
	s_load_dword s16, s[0:1], 0x0
	s_add_u32 s2, s2, 12
	s_addc_u32 s3, s3, 0
	s_waitcnt lgkmcnt(0)
	v_mul_hi_u32 v5, s7, v3
	v_add_u32_e32 v5, v3, v5
	v_lshrrev_b32_e32 v5, s5, v5
	s_add_u32 s0, s0, 4
	v_mul_lo_u32 v7, v5, s6
	s_addc_u32 s1, s1, 0
	s_add_i32 s4, s4, -1
	v_sub_u32_e32 v7, v3, v7
	s_cmp_lg_u32 s4, 0
	v_mov_b32_e32 v3, v5
	v_mad_u64_u32 v[6:7], s[6:7], v7, s16, v[6:7]
	s_cbranch_scc1 .LBB5_78
.LBB5_79:                               ;   in Loop: Header=BB5_9 Depth=1
	s_cbranch_execnz .LBB5_7
.LBB5_80:                               ;   in Loop: Header=BB5_9 Depth=1
	v_mul_hi_u32 v3, v4, s10
	v_add_u32_e32 v3, v3, v4
	v_lshrrev_b32_e32 v3, s11, v3
	v_mul_lo_u32 v5, v3, s9
	v_sub_u32_e32 v4, v4, v5
	s_andn2_b64 vcc, exec, s[48:49]
	v_mul_lo_u32 v6, v4, s46
	s_cbranch_vccnz .LBB5_7
; %bb.81:                               ;   in Loop: Header=BB5_9 Depth=1
	v_mul_hi_u32 v4, s13, v3
	v_add_u32_e32 v4, v3, v4
	v_lshrrev_b32_e32 v4, s14, v4
	v_mul_lo_u32 v4, v4, s12
	v_sub_u32_e32 v3, v3, v4
	v_mad_u64_u32 v[6:7], s[0:1], v3, s47, v[6:7]
	s_branch .LBB5_7
.LBB5_82:
	s_endpgm
.LBB5_83:
                                        ; implicit-def: $sgpr2_sgpr3
	s_andn2_b64 vcc, exec, s[0:1]
	s_cbranch_vccz .LBB5_4
	s_branch .LBB5_5
	.section	.rodata,"a",@progbits
	.p2align	6, 0x0
	.amdhsa_kernel _ZN2at6native12_GLOBAL__N_143distribution_elementwise_grid_stride_kernelIfLi4EZNS0_9templates4cuda21uniform_and_transformIafPNS_17CUDAGeneratorImplEZZZNS4_16geometric_kernelIS7_EEvRNS_18TensorIteratorBaseEdT_ENKUlvE_clEvENKUlvE0_clEvEUlfE_EEvSA_T1_T2_EUlP25hiprandStatePhilox4_32_10E_ZNS1_27distribution_nullary_kernelIaf15HIP_vector_typeIdLj2EES7_SJ_SE_EEvSA_SG_RKT3_T4_EUlifE0_EEvlNS_15PhiloxCudaStateESF_SG_
		.amdhsa_group_segment_fixed_size 0
		.amdhsa_private_segment_fixed_size 0
		.amdhsa_kernarg_size 584
		.amdhsa_user_sgpr_count 6
		.amdhsa_user_sgpr_private_segment_buffer 1
		.amdhsa_user_sgpr_dispatch_ptr 0
		.amdhsa_user_sgpr_queue_ptr 0
		.amdhsa_user_sgpr_kernarg_segment_ptr 1
		.amdhsa_user_sgpr_dispatch_id 0
		.amdhsa_user_sgpr_flat_scratch_init 0
		.amdhsa_user_sgpr_kernarg_preload_length 0
		.amdhsa_user_sgpr_kernarg_preload_offset 0
		.amdhsa_user_sgpr_private_segment_size 0
		.amdhsa_uses_dynamic_stack 0
		.amdhsa_system_sgpr_private_segment_wavefront_offset 0
		.amdhsa_system_sgpr_workgroup_id_x 1
		.amdhsa_system_sgpr_workgroup_id_y 0
		.amdhsa_system_sgpr_workgroup_id_z 0
		.amdhsa_system_sgpr_workgroup_info 0
		.amdhsa_system_vgpr_workitem_id 0
		.amdhsa_next_free_vgpr 46
		.amdhsa_next_free_sgpr 70
		.amdhsa_accum_offset 48
		.amdhsa_reserve_vcc 1
		.amdhsa_reserve_flat_scratch 0
		.amdhsa_float_round_mode_32 0
		.amdhsa_float_round_mode_16_64 0
		.amdhsa_float_denorm_mode_32 3
		.amdhsa_float_denorm_mode_16_64 3
		.amdhsa_dx10_clamp 1
		.amdhsa_ieee_mode 1
		.amdhsa_fp16_overflow 0
		.amdhsa_tg_split 0
		.amdhsa_exception_fp_ieee_invalid_op 0
		.amdhsa_exception_fp_denorm_src 0
		.amdhsa_exception_fp_ieee_div_zero 0
		.amdhsa_exception_fp_ieee_overflow 0
		.amdhsa_exception_fp_ieee_underflow 0
		.amdhsa_exception_fp_ieee_inexact 0
		.amdhsa_exception_int_div_zero 0
	.end_amdhsa_kernel
	.section	.text._ZN2at6native12_GLOBAL__N_143distribution_elementwise_grid_stride_kernelIfLi4EZNS0_9templates4cuda21uniform_and_transformIafPNS_17CUDAGeneratorImplEZZZNS4_16geometric_kernelIS7_EEvRNS_18TensorIteratorBaseEdT_ENKUlvE_clEvENKUlvE0_clEvEUlfE_EEvSA_T1_T2_EUlP25hiprandStatePhilox4_32_10E_ZNS1_27distribution_nullary_kernelIaf15HIP_vector_typeIdLj2EES7_SJ_SE_EEvSA_SG_RKT3_T4_EUlifE0_EEvlNS_15PhiloxCudaStateESF_SG_,"axG",@progbits,_ZN2at6native12_GLOBAL__N_143distribution_elementwise_grid_stride_kernelIfLi4EZNS0_9templates4cuda21uniform_and_transformIafPNS_17CUDAGeneratorImplEZZZNS4_16geometric_kernelIS7_EEvRNS_18TensorIteratorBaseEdT_ENKUlvE_clEvENKUlvE0_clEvEUlfE_EEvSA_T1_T2_EUlP25hiprandStatePhilox4_32_10E_ZNS1_27distribution_nullary_kernelIaf15HIP_vector_typeIdLj2EES7_SJ_SE_EEvSA_SG_RKT3_T4_EUlifE0_EEvlNS_15PhiloxCudaStateESF_SG_,comdat
.Lfunc_end5:
	.size	_ZN2at6native12_GLOBAL__N_143distribution_elementwise_grid_stride_kernelIfLi4EZNS0_9templates4cuda21uniform_and_transformIafPNS_17CUDAGeneratorImplEZZZNS4_16geometric_kernelIS7_EEvRNS_18TensorIteratorBaseEdT_ENKUlvE_clEvENKUlvE0_clEvEUlfE_EEvSA_T1_T2_EUlP25hiprandStatePhilox4_32_10E_ZNS1_27distribution_nullary_kernelIaf15HIP_vector_typeIdLj2EES7_SJ_SE_EEvSA_SG_RKT3_T4_EUlifE0_EEvlNS_15PhiloxCudaStateESF_SG_, .Lfunc_end5-_ZN2at6native12_GLOBAL__N_143distribution_elementwise_grid_stride_kernelIfLi4EZNS0_9templates4cuda21uniform_and_transformIafPNS_17CUDAGeneratorImplEZZZNS4_16geometric_kernelIS7_EEvRNS_18TensorIteratorBaseEdT_ENKUlvE_clEvENKUlvE0_clEvEUlfE_EEvSA_T1_T2_EUlP25hiprandStatePhilox4_32_10E_ZNS1_27distribution_nullary_kernelIaf15HIP_vector_typeIdLj2EES7_SJ_SE_EEvSA_SG_RKT3_T4_EUlifE0_EEvlNS_15PhiloxCudaStateESF_SG_
                                        ; -- End function
	.section	.AMDGPU.csdata,"",@progbits
; Kernel info:
; codeLenInByte = 5432
; NumSgprs: 74
; NumVgprs: 46
; NumAgprs: 0
; TotalNumVgprs: 46
; ScratchSize: 0
; MemoryBound: 0
; FloatMode: 240
; IeeeMode: 1
; LDSByteSize: 0 bytes/workgroup (compile time only)
; SGPRBlocks: 9
; VGPRBlocks: 5
; NumSGPRsForWavesPerEU: 74
; NumVGPRsForWavesPerEU: 46
; AccumOffset: 48
; Occupancy: 8
; WaveLimiterHint : 1
; COMPUTE_PGM_RSRC2:SCRATCH_EN: 0
; COMPUTE_PGM_RSRC2:USER_SGPR: 6
; COMPUTE_PGM_RSRC2:TRAP_HANDLER: 0
; COMPUTE_PGM_RSRC2:TGID_X_EN: 1
; COMPUTE_PGM_RSRC2:TGID_Y_EN: 0
; COMPUTE_PGM_RSRC2:TGID_Z_EN: 0
; COMPUTE_PGM_RSRC2:TIDIG_COMP_CNT: 0
; COMPUTE_PGM_RSRC3_GFX90A:ACCUM_OFFSET: 11
; COMPUTE_PGM_RSRC3_GFX90A:TG_SPLIT: 0
	.section	.text._ZN2at6native12_GLOBAL__N_143distribution_elementwise_grid_stride_kernelIfLi4EZNS0_9templates4cuda21uniform_and_transformIafPNS_17CUDAGeneratorImplEZZZNS4_16geometric_kernelIS7_EEvRNS_18TensorIteratorBaseEdT_ENKUlvE_clEvENKUlvE0_clEvEUlfE_EEvSA_T1_T2_EUlP25hiprandStatePhilox4_32_10E0_ZNS1_27distribution_nullary_kernelIaf15HIP_vector_typeIfLj4EES7_SJ_SE_EEvSA_SG_RKT3_T4_EUlifE_EEvlNS_15PhiloxCudaStateESF_SG_,"axG",@progbits,_ZN2at6native12_GLOBAL__N_143distribution_elementwise_grid_stride_kernelIfLi4EZNS0_9templates4cuda21uniform_and_transformIafPNS_17CUDAGeneratorImplEZZZNS4_16geometric_kernelIS7_EEvRNS_18TensorIteratorBaseEdT_ENKUlvE_clEvENKUlvE0_clEvEUlfE_EEvSA_T1_T2_EUlP25hiprandStatePhilox4_32_10E0_ZNS1_27distribution_nullary_kernelIaf15HIP_vector_typeIfLj4EES7_SJ_SE_EEvSA_SG_RKT3_T4_EUlifE_EEvlNS_15PhiloxCudaStateESF_SG_,comdat
	.globl	_ZN2at6native12_GLOBAL__N_143distribution_elementwise_grid_stride_kernelIfLi4EZNS0_9templates4cuda21uniform_and_transformIafPNS_17CUDAGeneratorImplEZZZNS4_16geometric_kernelIS7_EEvRNS_18TensorIteratorBaseEdT_ENKUlvE_clEvENKUlvE0_clEvEUlfE_EEvSA_T1_T2_EUlP25hiprandStatePhilox4_32_10E0_ZNS1_27distribution_nullary_kernelIaf15HIP_vector_typeIfLj4EES7_SJ_SE_EEvSA_SG_RKT3_T4_EUlifE_EEvlNS_15PhiloxCudaStateESF_SG_ ; -- Begin function _ZN2at6native12_GLOBAL__N_143distribution_elementwise_grid_stride_kernelIfLi4EZNS0_9templates4cuda21uniform_and_transformIafPNS_17CUDAGeneratorImplEZZZNS4_16geometric_kernelIS7_EEvRNS_18TensorIteratorBaseEdT_ENKUlvE_clEvENKUlvE0_clEvEUlfE_EEvSA_T1_T2_EUlP25hiprandStatePhilox4_32_10E0_ZNS1_27distribution_nullary_kernelIaf15HIP_vector_typeIfLj4EES7_SJ_SE_EEvSA_SG_RKT3_T4_EUlifE_EEvlNS_15PhiloxCudaStateESF_SG_
	.p2align	8
	.type	_ZN2at6native12_GLOBAL__N_143distribution_elementwise_grid_stride_kernelIfLi4EZNS0_9templates4cuda21uniform_and_transformIafPNS_17CUDAGeneratorImplEZZZNS4_16geometric_kernelIS7_EEvRNS_18TensorIteratorBaseEdT_ENKUlvE_clEvENKUlvE0_clEvEUlfE_EEvSA_T1_T2_EUlP25hiprandStatePhilox4_32_10E0_ZNS1_27distribution_nullary_kernelIaf15HIP_vector_typeIfLj4EES7_SJ_SE_EEvSA_SG_RKT3_T4_EUlifE_EEvlNS_15PhiloxCudaStateESF_SG_,@function
_ZN2at6native12_GLOBAL__N_143distribution_elementwise_grid_stride_kernelIfLi4EZNS0_9templates4cuda21uniform_and_transformIafPNS_17CUDAGeneratorImplEZZZNS4_16geometric_kernelIS7_EEvRNS_18TensorIteratorBaseEdT_ENKUlvE_clEvENKUlvE0_clEvEUlfE_EEvSA_T1_T2_EUlP25hiprandStatePhilox4_32_10E0_ZNS1_27distribution_nullary_kernelIaf15HIP_vector_typeIfLj4EES7_SJ_SE_EEvSA_SG_RKT3_T4_EUlifE_EEvlNS_15PhiloxCudaStateESF_SG_: ; @_ZN2at6native12_GLOBAL__N_143distribution_elementwise_grid_stride_kernelIfLi4EZNS0_9templates4cuda21uniform_and_transformIafPNS_17CUDAGeneratorImplEZZZNS4_16geometric_kernelIS7_EEvRNS_18TensorIteratorBaseEdT_ENKUlvE_clEvENKUlvE0_clEvEUlfE_EEvSA_T1_T2_EUlP25hiprandStatePhilox4_32_10E0_ZNS1_27distribution_nullary_kernelIaf15HIP_vector_typeIfLj4EES7_SJ_SE_EEvSA_SG_RKT3_T4_EUlifE_EEvlNS_15PhiloxCudaStateESF_SG_
; %bb.0:
	s_load_dword s7, s[4:5], 0x20
	s_load_dwordx2 s[10:11], s[4:5], 0x10
	s_load_dwordx4 s[0:3], s[4:5], 0x0
	s_mov_b32 s8, 0
	s_waitcnt lgkmcnt(0)
	s_bitcmp0_b32 s7, 0
	v_pk_mov_b32 v[2:3], s[10:11], s[10:11] op_sel:[0,1]
	v_pk_mov_b32 v[14:15], s[2:3], s[2:3] op_sel:[0,1]
	s_cbranch_scc1 .LBB6_2
; %bb.1:
	v_pk_mov_b32 v[2:3], s[10:11], s[10:11] op_sel:[0,1]
	flat_load_dwordx2 v[2:3], v[2:3]
	v_pk_mov_b32 v[4:5], s[2:3], s[2:3] op_sel:[0,1]
	flat_load_dwordx2 v[14:15], v[4:5]
	s_load_dwordx2 s[2:3], s[4:5], 0x18
	s_waitcnt lgkmcnt(0)
	v_mov_b32_e32 v1, s3
	s_waitcnt vmcnt(0)
	v_add_co_u32_e32 v2, vcc, s2, v2
	v_addc_co_u32_e32 v3, vcc, v3, v1, vcc
.LBB6_2:
	s_load_dword s2, s[4:5], 0x54
	s_load_dword s21, s[4:5], 0x48
	s_waitcnt lgkmcnt(0)
	s_and_b32 s7, s2, 0xffff
	s_add_u32 s10, s0, -1
	s_mul_i32 s12, s21, s7
	s_addc_u32 s9, s1, -1
	s_lshl_b32 s13, s12, 2
	s_cmp_lg_u64 s[8:9], 0
	s_mov_b64 s[2:3], -1
	s_cbranch_scc0 .LBB6_27
; %bb.3:
	v_cvt_f32_u32_e32 v1, s13
	v_cvt_f32_ubyte0_e32 v4, 0
	s_sub_u32 s8, 0, s13
	s_subb_u32 s11, 0, 0
	v_madmk_f32 v1, v4, 0x4f800000, v1
	v_rcp_f32_e32 v1, v1
	v_mul_f32_e32 v1, 0x5f7ffffc, v1
	v_mul_f32_e32 v4, 0x2f800000, v1
	v_trunc_f32_e32 v4, v4
	v_madmk_f32 v1, v4, 0xcf800000, v1
	v_cvt_u32_f32_e32 v4, v4
	v_cvt_u32_f32_e32 v1, v1
	v_readfirstlane_b32 s14, v4
	v_readfirstlane_b32 s15, v1
	s_mul_i32 s16, s8, s14
	s_mul_hi_u32 s18, s8, s15
	s_mul_i32 s17, s11, s15
	s_add_i32 s16, s18, s16
	s_add_i32 s16, s16, s17
	s_mul_i32 s19, s8, s15
	s_mul_hi_u32 s17, s15, s16
	s_mul_i32 s18, s15, s16
	s_mul_hi_u32 s15, s15, s19
	s_add_u32 s15, s15, s18
	s_addc_u32 s17, 0, s17
	s_mul_hi_u32 s20, s14, s19
	s_mul_i32 s19, s14, s19
	s_add_u32 s15, s15, s19
	s_mul_hi_u32 s18, s14, s16
	s_addc_u32 s15, s17, s20
	s_addc_u32 s17, s18, 0
	s_mul_i32 s16, s14, s16
	s_add_u32 s15, s15, s16
	s_addc_u32 s16, 0, s17
	v_add_co_u32_e32 v1, vcc, s15, v1
	s_cmp_lg_u64 vcc, 0
	s_addc_u32 s14, s14, s16
	v_readfirstlane_b32 s16, v1
	s_mul_i32 s15, s8, s14
	s_mul_hi_u32 s17, s8, s16
	s_add_i32 s15, s17, s15
	s_mul_i32 s11, s11, s16
	s_add_i32 s15, s15, s11
	s_mul_i32 s8, s8, s16
	s_mul_hi_u32 s17, s14, s8
	s_mul_i32 s18, s14, s8
	s_mul_i32 s20, s16, s15
	s_mul_hi_u32 s8, s16, s8
	s_mul_hi_u32 s19, s16, s15
	s_add_u32 s8, s8, s20
	s_addc_u32 s16, 0, s19
	s_add_u32 s8, s8, s18
	s_mul_hi_u32 s11, s14, s15
	s_addc_u32 s8, s16, s17
	s_addc_u32 s11, s11, 0
	s_mul_i32 s15, s14, s15
	s_add_u32 s8, s8, s15
	s_addc_u32 s11, 0, s11
	v_add_co_u32_e32 v1, vcc, s8, v1
	s_cmp_lg_u64 vcc, 0
	s_addc_u32 s11, s14, s11
	s_ashr_i32 s14, s9, 31
	s_add_u32 s8, s10, s14
	s_mov_b32 s15, s14
	s_addc_u32 s9, s9, s14
	s_xor_b64 s[8:9], s[8:9], s[14:15]
	v_readfirstlane_b32 s18, v1
	s_mul_i32 s17, s8, s11
	s_mul_hi_u32 s19, s8, s18
	s_mul_hi_u32 s16, s8, s11
	s_add_u32 s17, s19, s17
	s_addc_u32 s16, 0, s16
	s_mul_hi_u32 s20, s9, s18
	s_mul_i32 s18, s9, s18
	s_add_u32 s17, s17, s18
	s_mul_hi_u32 s19, s9, s11
	s_addc_u32 s16, s16, s20
	s_addc_u32 s17, s19, 0
	s_mul_i32 s11, s9, s11
	s_add_u32 s11, s16, s11
	s_addc_u32 s16, 0, s17
	s_add_u32 s17, s11, 1
	s_addc_u32 s18, s16, 0
	s_add_u32 s19, s11, 2
	s_mul_i32 s22, s13, s16
	s_mul_hi_u32 s23, s13, s11
	s_addc_u32 s20, s16, 0
	s_add_i32 s23, s23, s22
	s_mul_i32 s22, s13, s11
	v_mov_b32_e32 v1, s22
	v_sub_co_u32_e32 v1, vcc, s8, v1
	s_cmp_lg_u64 vcc, 0
	s_subb_u32 s8, s9, s23
	v_subrev_co_u32_e32 v4, vcc, s13, v1
	s_cmp_lg_u64 vcc, 0
	s_subb_u32 s9, s8, 0
	v_readfirstlane_b32 s22, v4
	s_cmp_ge_u32 s22, s13
	s_cselect_b32 s22, -1, 0
	s_cmp_eq_u32 s9, 0
	s_cselect_b32 s9, s22, -1
	s_cmp_lg_u32 s9, 0
	s_cselect_b32 s9, s20, s18
	v_readfirstlane_b32 s18, v1
	s_cselect_b32 s17, s19, s17
	s_cmp_ge_u32 s18, s13
	s_cselect_b32 s18, -1, 0
	s_cmp_eq_u32 s8, 0
	s_cselect_b32 s8, s18, -1
	s_cmp_lg_u32 s8, 0
	s_cselect_b32 s9, s9, s16
	s_cselect_b32 s8, s17, s11
	s_xor_b64 s[8:9], s[8:9], s[14:15]
	s_sub_u32 s8, s8, s14
	s_subb_u32 s9, s9, s14
	s_cbranch_execnz .LBB6_5
.LBB6_4:
	v_cvt_f32_u32_e32 v1, s13
	s_sub_i32 s2, 0, s13
	s_mov_b32 s9, 0
	v_rcp_iflag_f32_e32 v1, v1
	v_mul_f32_e32 v1, 0x4f7ffffe, v1
	v_cvt_u32_f32_e32 v1, v1
	v_readfirstlane_b32 s3, v1
	s_mul_i32 s2, s2, s3
	s_mul_hi_u32 s2, s3, s2
	s_add_i32 s3, s3, s2
	s_mul_hi_u32 s2, s10, s3
	s_mul_i32 s8, s2, s13
	s_sub_i32 s8, s10, s8
	s_add_i32 s3, s2, 1
	s_sub_i32 s10, s8, s13
	s_cmp_ge_u32 s8, s13
	s_cselect_b32 s2, s3, s2
	s_cselect_b32 s8, s10, s8
	s_add_i32 s3, s2, 1
	s_cmp_ge_u32 s8, s13
	s_cselect_b32 s8, s3, s2
.LBB6_5:
	v_mov_b32_e32 v1, 0
	v_mov_b32_e32 v4, s6
	v_mad_u64_u32 v[16:17], s[2:3], s7, v4, v[0:1]
	s_add_u32 s2, s8, 1
	s_addc_u32 s3, s9, 0
	s_mul_hi_u32 s8, s21, s7
	s_mul_i32 s3, s12, s3
	s_mul_hi_u32 s9, s12, s2
	s_add_i32 s3, s9, s3
	s_mul_i32 s8, s8, s2
	s_add_i32 s3, s3, s8
	s_mul_i32 s2, s12, s2
	s_lshl_b64 s[2:3], s[2:3], 2
	v_cmp_gt_i64_e32 vcc, s[2:3], v[16:17]
	s_and_saveexec_b64 s[8:9], vcc
	s_cbranch_execz .LBB6_26
; %bb.6:
	s_load_dwordx2 s[8:9], s[4:5], 0x30
	s_load_dword s23, s[4:5], 0x38
	s_load_dwordx2 s[10:11], s[4:5], 0x40
	s_mov_b32 s4, 0x5384540f
	v_mov_b32_e32 v4, v15
	v_add_co_u32_e32 v22, vcc, s4, v14
	s_mov_b32 s4, 0x646e171e
	v_add_co_u32_e32 v23, vcc, s4, v4
	s_mov_b32 s4, 0x1715609d
	;; [unrolled: 2-line block ×6, first 2 shown]
	v_alignbit_b32 v29, v3, v2, 2
	s_mov_b32 s15, 0xd2511f53
	v_add_co_u32_e32 v28, vcc, s4, v14
	v_mad_u64_u32 v[6:7], s[4:5], v29, s15, 0
	v_xor_b32_e32 v1, v7, v15
	v_xor_b32_e32 v1, v1, v17
	s_mov_b32 s16, 0xcd9e8d57
	v_mad_u64_u32 v[8:9], s[4:5], v1, s16, 0
	v_xor_b32_e32 v1, v28, v9
	v_mad_u64_u32 v[10:11], s[4:5], v16, s16, 0
	v_and_b32_e32 v18, 3, v2
	v_xor_b32_e32 v1, v1, v10
	v_xor_b32_e32 v2, v14, v11
	v_lshrrev_b32_e32 v30, 2, v3
	v_mad_u64_u32 v[12:13], s[4:5], v1, s15, 0
	v_xor_b32_e32 v2, v2, v30
	v_xor_b32_e32 v1, v27, v13
	v_mad_u64_u32 v[2:3], s[4:5], v2, s15, 0
	v_xor_b32_e32 v1, v1, v2
	v_mad_u64_u32 v[10:11], s[4:5], v1, s16, 0
	s_mov_b32 s4, 0xbb67ae85
	v_add_co_u32_e32 v31, vcc, s4, v4
	v_xor_b32_e32 v2, v31, v3
	v_xor_b32_e32 v2, v2, v6
	v_xor_b32_e32 v1, v26, v11
	v_mad_u64_u32 v[2:3], s[4:5], v2, s16, 0
	v_xor_b32_e32 v1, v1, v2
	v_mad_u64_u32 v[6:7], s[4:5], v1, s15, 0
	s_mov_b32 s4, 0x3c6ef372
	v_add_co_u32_e32 v32, vcc, s4, v14
	v_xor_b32_e32 v2, v32, v3
	;; [unrolled: 8-line block ×6, first 2 shown]
	v_add_co_u32_e32 v21, vcc, 0xdb3d7428, v4
	v_xor_b32_e32 v2, v2, v8
	v_xor_b32_e32 v1, v21, v7
	v_mad_u64_u32 v[2:3], s[4:5], v2, s15, 0
	v_xor_b32_e32 v1, v1, v2
	v_mad_u64_u32 v[8:9], s[4:5], v1, s16, 0
	s_mov_b32 s4, 0x1fd5c5a3
	v_add_co_u32_e32 v37, vcc, s4, v4
	v_xor_b32_e32 v1, v37, v3
	v_xor_b32_e32 v1, v1, v12
	v_mad_u64_u32 v[2:3], s[4:5], v1, s16, 0
	s_mov_b32 s4, 0xf1bbcdc8
	v_add_u32_e32 v19, 0x8ff34781, v14
	v_xor_b32_e32 v1, v9, v2
	v_add_co_u32_e32 v38, vcc, s4, v14
	v_xor_b32_e32 v2, v19, v1
	v_xor_b32_e32 v1, v38, v3
	;; [unrolled: 1-line block ×3, first 2 shown]
	v_mad_u64_u32 v[10:11], s[4:5], v1, s15, 0
	v_add_u32_e32 v20, 0x96a522ad, v15
	v_xor_b32_e32 v1, v11, v6
	v_xor_b32_e32 v4, v20, v1
	s_waitcnt lgkmcnt(0)
	v_cvt_f32_f64_e32 v1, s[10:11]
	v_mov_b32_e32 v3, v8
	v_sub_f32_e32 v8, 1.0, v1
	v_add_f32_e32 v6, -1.0, v8
	v_sub_f32_e32 v7, v6, v8
	v_add_f32_e32 v7, 1.0, v7
	v_sub_f32_e64 v6, -v1, v6
	v_mov_b32_e32 v5, v10
	v_add_f32_e32 v9, v6, v7
	v_frexp_mant_f32_e32 v10, v8
	s_mov_b32 s4, 0x3f2aaaab
	v_cvt_f64_f32_e32 v[6:7], v8
	v_frexp_exp_i32_f64_e32 v6, v[6:7]
	v_cmp_gt_f32_e32 vcc, s4, v10
	v_subbrev_co_u32_e32 v6, vcc, 0, v6, vcc
	v_sub_u32_e32 v7, 0, v6
	v_ldexp_f32 v8, v8, v7
	v_ldexp_f32 v7, v9, v7
	v_add_f32_e32 v9, -1.0, v8
	v_add_f32_e32 v12, 1.0, v8
	v_add_f32_e32 v10, 1.0, v9
	v_add_f32_e32 v13, -1.0, v12
	v_sub_f32_e32 v10, v8, v10
	v_sub_f32_e32 v8, v8, v13
	v_add_f32_e32 v10, v7, v10
	v_add_f32_e32 v7, v7, v8
	;; [unrolled: 1-line block ×3, first 2 shown]
	v_rcp_f32_e32 v13, v8
	v_add_f32_e32 v11, v9, v10
	v_sub_f32_e32 v9, v11, v9
	v_sub_f32_e32 v9, v10, v9
	;; [unrolled: 1-line block ×4, first 2 shown]
	v_mul_f32_e32 v10, v11, v13
	v_mul_f32_e32 v12, v8, v10
	v_fma_f32 v39, v10, v8, -v12
	v_fmac_f32_e32 v39, v10, v7
	v_add_f32_e32 v40, v12, v39
	v_sub_f32_e32 v41, v11, v40
	v_sub_f32_e32 v11, v11, v41
	;; [unrolled: 1-line block ×4, first 2 shown]
	v_add_f32_e32 v9, v9, v11
	v_sub_f32_e32 v11, v12, v39
	v_add_f32_e32 v9, v11, v9
	v_add_f32_e32 v11, v41, v9
	v_mul_f32_e32 v12, v13, v11
	v_mul_f32_e32 v39, v8, v12
	v_fma_f32 v8, v12, v8, -v39
	v_fmac_f32_e32 v8, v12, v7
	v_sub_f32_e32 v7, v41, v11
	v_add_f32_e32 v7, v9, v7
	v_add_f32_e32 v9, v39, v8
	v_sub_f32_e32 v40, v11, v9
	v_sub_f32_e32 v11, v11, v40
	;; [unrolled: 1-line block ×4, first 2 shown]
	v_add_f32_e32 v7, v7, v9
	v_sub_f32_e32 v8, v39, v8
	v_add_f32_e32 v7, v8, v7
	v_add_f32_e32 v8, v10, v12
	;; [unrolled: 1-line block ×3, first 2 shown]
	v_sub_f32_e32 v9, v8, v10
	v_mul_f32_e32 v7, v13, v7
	v_sub_f32_e32 v9, v12, v9
	v_add_f32_e32 v7, v9, v7
	v_cvt_f32_i32_e32 v6, v6
	v_add_f32_e32 v9, v8, v7
	v_mul_f32_e32 v10, v9, v9
	v_mov_b32_e32 v11, 0x3ecc95a3
	v_fmac_f32_e32 v11, 0x3e9b6dac, v10
	v_mov_b32_e32 v12, 0x3f2aaada
	v_fmac_f32_e32 v12, v10, v11
	s_mov_b32 s4, 0x3f317218
	v_mul_f32_e32 v11, 0x3f317218, v6
	v_fma_f32 v13, v6, s4, -v11
	v_fmac_f32_e32 v13, 0xb102e308, v6
	v_sub_f32_e32 v6, v9, v8
	v_sub_f32_e32 v6, v7, v6
	v_add_f32_e32 v7, v11, v13
	v_sub_f32_e32 v8, v7, v11
	v_ldexp_f32 v11, v9, 1
	v_mul_f32_e32 v9, v9, v10
	v_mul_f32_e32 v9, v9, v12
	v_add_f32_e32 v10, v11, v9
	v_sub_f32_e32 v11, v10, v11
	v_ldexp_f32 v6, v6, 1
	v_sub_f32_e32 v9, v9, v11
	v_add_f32_e32 v6, v6, v9
	v_add_f32_e32 v9, v10, v6
	v_sub_f32_e32 v10, v9, v10
	v_sub_f32_e32 v6, v6, v10
	v_add_f32_e32 v10, v7, v9
	v_sub_f32_e32 v11, v10, v7
	v_sub_f32_e32 v12, v10, v11
	;; [unrolled: 1-line block ×5, first 2 shown]
	v_add_f32_e32 v7, v9, v7
	v_add_f32_e32 v9, v8, v6
	v_sub_f32_e32 v11, v9, v8
	v_sub_f32_e32 v12, v9, v11
	;; [unrolled: 1-line block ×4, first 2 shown]
	v_add_f32_e32 v7, v9, v7
	v_add_f32_e32 v6, v6, v8
	;; [unrolled: 1-line block ×3, first 2 shown]
	v_sub_f32_e32 v9, v8, v10
	v_sub_f32_e32 v7, v7, v9
	v_add_f32_e32 v6, v6, v7
	s_mov_b32 s4, 0xff800000
	v_add_f32_e32 v6, v8, v6
	v_cmp_eq_f32_e32 vcc, s4, v1
	v_cndmask_b32_e64 v6, v6, -v1, vcc
	v_mov_b32_e32 v7, 0x7fc00000
	v_cmp_nlt_f32_e32 vcc, 1.0, v1
	v_cndmask_b32_e32 v6, v7, v6, vcc
	v_mov_b32_e32 v7, 0xff800000
	v_cmp_neq_f32_e32 vcc, 1.0, v1
	s_mov_b32 s4, 0x33800000
	v_cndmask_b32_e32 v6, v7, v6, vcc
	v_cmp_lt_f32_e64 s[4:5], |v1|, s4
	v_cndmask_b32_e64 v39, v6, -v1, s[4:5]
	s_mul_i32 s4, s6, s7
	v_add_u32_e32 v1, s4, v0
	s_mul_i32 s4, s21, s23
	s_mul_i32 s4, s4, s7
	s_lshl_b32 s22, s4, 2
	s_mul_i32 s4, s21, 3
	s_add_i32 s4, s6, s4
	s_mul_i32 s4, s4, s7
	v_mul_lo_u32 v40, s23, v1
	v_add_u32_e32 v1, s4, v0
	s_lshl_b32 s4, s21, 1
	s_add_i32 s4, s6, s4
	s_mul_i32 s4, s4, s7
	v_mul_lo_u32 v41, s23, v1
	v_add_u32_e32 v1, s4, v0
	s_add_i32 s4, s6, s21
	s_mul_i32 s4, s4, s7
	s_mov_b32 s14, 0
	v_add_u32_e32 v0, s4, v0
	s_lshl_b32 s17, s12, 1
	s_mov_b32 s18, s14
	s_mul_i32 s19, s12, 3
	s_mov_b32 s20, s14
	v_mul_lo_u32 v42, s23, v1
	v_mul_lo_u32 v43, s23, v0
	s_mov_b64 s[4:5], 0
	s_mov_b32 s21, 0x800000
	s_mov_b32 s23, 0x3f317217
	;; [unrolled: 1-line block ×3, first 2 shown]
	v_mov_b32_e32 v44, 0x4f800000
	v_mov_b32_e32 v45, 0x41b17218
	s_mov_b32 s25, s14
	v_mov_b32_e32 v46, v16
	v_mov_b32_e32 v47, v17
	s_branch .LBB6_8
.LBB6_7:                                ;   in Loop: Header=BB6_8 Depth=1
	s_or_b64 exec, exec, s[6:7]
	v_add_co_u32_e32 v16, vcc, s13, v16
	v_addc_co_u32_e32 v17, vcc, 0, v17, vcc
	v_mov_b32_e32 v9, v0
	s_add_i32 s25, s25, s22
	v_cmp_le_i64_e32 vcc, s[2:3], v[16:17]
	v_pk_mov_b32 v[2:3], v[6:7], v[6:7] op_sel:[0,1]
	s_or_b64 s[4:5], vcc, s[4:5]
	v_pk_mov_b32 v[4:5], v[8:9], v[8:9] op_sel:[0,1]
	s_barrier
	s_andn2_b64 exec, exec, s[4:5]
	s_cbranch_execz .LBB6_26
.LBB6_8:                                ; =>This Inner Loop Header: Depth=1
	v_add_co_u32_e32 v29, vcc, 1, v29
	v_cndmask_b32_e64 v0, 0, 1, vcc
	v_addc_co_u32_e32 v30, vcc, 0, v30, vcc
	v_cmp_eq_u32_e32 vcc, 0, v30
	v_cndmask_b32_e32 v0, 0, v0, vcc
	v_add_u32_e32 v46, v0, v46
	v_cmp_eq_u32_e32 vcc, 0, v46
	v_cndmask_b32_e32 v0, 0, v0, vcc
	v_add_u32_e32 v47, v0, v47
	v_mad_u64_u32 v[0:1], s[6:7], v29, s15, 0
	v_mad_u64_u32 v[6:7], s[6:7], v46, s16, 0
	v_xor_b32_e32 v1, v1, v15
	v_xor_b32_e32 v7, v7, v14
	v_xor_b32_e32 v1, v47, v1
	v_xor_b32_e32 v7, v30, v7
	v_mad_u64_u32 v[10:11], s[6:7], v1, s16, 0
	v_mad_u64_u32 v[8:9], s[6:7], v7, s15, 0
	v_xor_b32_e32 v1, v28, v11
	v_xor_b32_e32 v1, v1, v6
	v_xor_b32_e32 v6, v31, v9
	v_xor_b32_e32 v6, v6, v0
	;; [unrolled: 6-line block ×10, first 2 shown]
	v_mov_b32_e32 v7, v12
	v_mov_b32_e32 v8, v13
	v_cmp_lt_i32_e32 vcc, 1, v18
	s_and_saveexec_b64 s[6:7], vcc
	s_xor_b64 s[6:7], exec, s[6:7]
	s_cbranch_execnz .LBB6_18
; %bb.9:                                ;   in Loop: Header=BB6_8 Depth=1
	s_andn2_saveexec_b64 s[6:7], s[6:7]
	s_cbranch_execnz .LBB6_23
.LBB6_10:                               ;   in Loop: Header=BB6_8 Depth=1
	s_or_b64 exec, exec, s[6:7]
	v_cmp_gt_i64_e32 vcc, s[0:1], v[16:17]
	s_and_saveexec_b64 s[6:7], vcc
	s_cbranch_execz .LBB6_12
.LBB6_11:                               ;   in Loop: Header=BB6_8 Depth=1
	v_cvt_f32_u32_e32 v1, v2
	v_mov_b32_e32 v2, 0x2f800000
	v_mov_b32_e32 v11, s9
	v_fmac_f32_e32 v2, 0x2f800000, v1
	v_cmp_gt_f32_e32 vcc, s21, v2
	v_cndmask_b32_e32 v1, 1.0, v44, vcc
	v_mul_f32_e32 v1, v2, v1
	v_log_f32_e32 v1, v1
	v_cndmask_b32_e32 v2, 0, v45, vcc
	v_mul_f32_e32 v9, 0x3f317217, v1
	v_fma_f32 v10, v1, s23, -v9
	v_fmac_f32_e32 v10, 0x3377d1cf, v1
	v_add_f32_e32 v9, v9, v10
	v_cmp_lt_f32_e64 vcc, |v1|, s24
	v_cndmask_b32_e32 v1, v1, v9, vcc
	v_sub_f32_e32 v1, v1, v2
	v_div_scale_f32 v2, s[10:11], v39, v39, v1
	v_rcp_f32_e32 v9, v2
	v_add_u32_e32 v10, s25, v40
	v_ashrrev_i32_e32 v12, 31, v10
	v_fma_f32 v13, -v2, v9, 1.0
	v_fmac_f32_e32 v9, v13, v9
	v_div_scale_f32 v13, vcc, v1, v39, v1
	v_mul_f32_e32 v48, v13, v9
	v_fma_f32 v49, -v2, v48, v13
	v_fmac_f32_e32 v48, v49, v9
	v_fma_f32 v2, -v2, v48, v13
	v_div_fmas_f32 v2, v2, v9, v48
	v_div_fixup_f32 v1, v2, v39, v1
	v_ceil_f32_e32 v1, v1
	v_cvt_i32_f32_e32 v1, v1
	v_add_co_u32_e32 v10, vcc, s8, v10
	v_addc_co_u32_e32 v11, vcc, v11, v12, vcc
	global_store_byte v[10:11], v1, off
.LBB6_12:                               ;   in Loop: Header=BB6_8 Depth=1
	s_or_b64 exec, exec, s[6:7]
	v_mov_b32_e32 v1, s14
	v_add_co_u32_e32 v10, vcc, s12, v16
	v_addc_co_u32_e32 v11, vcc, v1, v17, vcc
	v_cmp_gt_i64_e32 vcc, s[0:1], v[10:11]
	s_and_saveexec_b64 s[6:7], vcc
	s_cbranch_execz .LBB6_14
; %bb.13:                               ;   in Loop: Header=BB6_8 Depth=1
	v_cvt_f32_u32_e32 v1, v3
	v_mov_b32_e32 v2, 0x2f800000
	v_mov_b32_e32 v10, s9
	v_fmac_f32_e32 v2, 0x2f800000, v1
	v_cmp_gt_f32_e32 vcc, s21, v2
	v_cndmask_b32_e32 v1, 1.0, v44, vcc
	v_mul_f32_e32 v1, v2, v1
	v_log_f32_e32 v1, v1
	v_cndmask_b32_e32 v2, 0, v45, vcc
	v_mul_f32_e32 v3, 0x3f317217, v1
	v_fma_f32 v9, v1, s23, -v3
	v_fmac_f32_e32 v9, 0x3377d1cf, v1
	v_add_f32_e32 v3, v3, v9
	v_cmp_lt_f32_e64 vcc, |v1|, s24
	v_cndmask_b32_e32 v1, v1, v3, vcc
	v_sub_f32_e32 v1, v1, v2
	v_div_scale_f32 v2, s[10:11], v39, v39, v1
	v_rcp_f32_e32 v3, v2
	v_add_u32_e32 v9, s25, v43
	v_ashrrev_i32_e32 v11, 31, v9
	v_fma_f32 v12, -v2, v3, 1.0
	v_fmac_f32_e32 v3, v12, v3
	v_div_scale_f32 v12, vcc, v1, v39, v1
	v_mul_f32_e32 v13, v12, v3
	v_fma_f32 v48, -v2, v13, v12
	v_fmac_f32_e32 v13, v48, v3
	v_fma_f32 v2, -v2, v13, v12
	v_div_fmas_f32 v2, v2, v3, v13
	v_div_fixup_f32 v1, v2, v39, v1
	v_ceil_f32_e32 v1, v1
	v_cvt_i32_f32_e32 v1, v1
	v_add_co_u32_e32 v2, vcc, s8, v9
	v_addc_co_u32_e32 v3, vcc, v10, v11, vcc
	global_store_byte v[2:3], v1, off
.LBB6_14:                               ;   in Loop: Header=BB6_8 Depth=1
	s_or_b64 exec, exec, s[6:7]
	v_mov_b32_e32 v1, s18
	v_add_co_u32_e32 v2, vcc, s17, v16
	v_addc_co_u32_e32 v3, vcc, v1, v17, vcc
	v_cmp_gt_i64_e32 vcc, s[0:1], v[2:3]
	s_and_saveexec_b64 s[6:7], vcc
	s_cbranch_execz .LBB6_16
; %bb.15:                               ;   in Loop: Header=BB6_8 Depth=1
	v_cvt_f32_u32_e32 v1, v4
	v_mov_b32_e32 v2, 0x2f800000
	v_mov_b32_e32 v9, s9
	v_fmac_f32_e32 v2, 0x2f800000, v1
	v_cmp_gt_f32_e32 vcc, s21, v2
	v_cndmask_b32_e32 v1, 1.0, v44, vcc
	v_mul_f32_e32 v1, v2, v1
	v_log_f32_e32 v1, v1
	v_cndmask_b32_e32 v2, 0, v45, vcc
	v_mul_f32_e32 v3, 0x3f317217, v1
	v_fma_f32 v4, v1, s23, -v3
	v_fmac_f32_e32 v4, 0x3377d1cf, v1
	v_add_f32_e32 v3, v3, v4
	v_cmp_lt_f32_e64 vcc, |v1|, s24
	v_cndmask_b32_e32 v1, v1, v3, vcc
	v_sub_f32_e32 v1, v1, v2
	v_div_scale_f32 v2, s[10:11], v39, v39, v1
	v_rcp_f32_e32 v3, v2
	v_add_u32_e32 v4, s25, v42
	v_ashrrev_i32_e32 v10, 31, v4
	v_fma_f32 v11, -v2, v3, 1.0
	v_fmac_f32_e32 v3, v11, v3
	v_div_scale_f32 v11, vcc, v1, v39, v1
	v_mul_f32_e32 v12, v11, v3
	v_fma_f32 v13, -v2, v12, v11
	v_fmac_f32_e32 v12, v13, v3
	v_fma_f32 v2, -v2, v12, v11
	v_div_fmas_f32 v2, v2, v3, v12
	v_div_fixup_f32 v1, v2, v39, v1
	v_ceil_f32_e32 v1, v1
	v_cvt_i32_f32_e32 v1, v1
	v_add_co_u32_e32 v2, vcc, s8, v4
	v_addc_co_u32_e32 v3, vcc, v9, v10, vcc
	global_store_byte v[2:3], v1, off
.LBB6_16:                               ;   in Loop: Header=BB6_8 Depth=1
	s_or_b64 exec, exec, s[6:7]
	v_mov_b32_e32 v1, s20
	v_add_co_u32_e32 v2, vcc, s19, v16
	v_addc_co_u32_e32 v3, vcc, v1, v17, vcc
	v_cmp_gt_i64_e32 vcc, s[0:1], v[2:3]
	s_and_saveexec_b64 s[6:7], vcc
	s_cbranch_execz .LBB6_7
; %bb.17:                               ;   in Loop: Header=BB6_8 Depth=1
	v_cvt_f32_u32_e32 v1, v5
	v_mov_b32_e32 v2, 0x2f800000
	v_mov_b32_e32 v5, s9
	v_fmac_f32_e32 v2, 0x2f800000, v1
	v_cmp_gt_f32_e32 vcc, s21, v2
	v_cndmask_b32_e32 v1, 1.0, v44, vcc
	v_mul_f32_e32 v1, v2, v1
	v_log_f32_e32 v1, v1
	v_cndmask_b32_e32 v2, 0, v45, vcc
	v_mul_f32_e32 v3, 0x3f317217, v1
	v_fma_f32 v4, v1, s23, -v3
	v_fmac_f32_e32 v4, 0x3377d1cf, v1
	v_add_f32_e32 v3, v3, v4
	v_cmp_lt_f32_e64 vcc, |v1|, s24
	v_cndmask_b32_e32 v1, v1, v3, vcc
	v_sub_f32_e32 v1, v1, v2
	v_div_scale_f32 v2, s[10:11], v39, v39, v1
	v_rcp_f32_e32 v3, v2
	v_add_u32_e32 v4, s25, v41
	v_ashrrev_i32_e32 v9, 31, v4
	v_fma_f32 v10, -v2, v3, 1.0
	v_fmac_f32_e32 v3, v10, v3
	v_div_scale_f32 v10, vcc, v1, v39, v1
	v_mul_f32_e32 v11, v10, v3
	v_fma_f32 v12, -v2, v11, v10
	v_fmac_f32_e32 v11, v12, v3
	v_fma_f32 v2, -v2, v11, v10
	v_div_fmas_f32 v2, v2, v3, v11
	v_div_fixup_f32 v1, v2, v39, v1
	v_ceil_f32_e32 v1, v1
	v_cvt_i32_f32_e32 v1, v1
	v_add_co_u32_e32 v2, vcc, s8, v4
	v_addc_co_u32_e32 v3, vcc, v5, v9, vcc
	global_store_byte v[2:3], v1, off
	s_branch .LBB6_7
.LBB6_18:                               ;   in Loop: Header=BB6_8 Depth=1
	v_cmp_lt_i32_e32 vcc, 2, v18
	s_and_saveexec_b64 s[10:11], vcc
	s_xor_b64 s[10:11], exec, s[10:11]
; %bb.19:                               ;   in Loop: Header=BB6_8 Depth=1
	v_mov_b32_e32 v10, v5
	v_mov_b32_e32 v11, v6
	v_pk_mov_b32 v[2:3], v[10:11], v[10:11] op_sel:[0,1]
	v_pk_mov_b32 v[4:5], v[12:13], v[12:13] op_sel:[0,1]
                                        ; implicit-def: $vgpr12_vgpr13
; %bb.20:                               ;   in Loop: Header=BB6_8 Depth=1
	s_andn2_saveexec_b64 s[10:11], s[10:11]
; %bb.21:                               ;   in Loop: Header=BB6_8 Depth=1
	v_mov_b32_e32 v2, v4
	v_mov_b32_e32 v3, v5
	;; [unrolled: 1-line block ×4, first 2 shown]
; %bb.22:                               ;   in Loop: Header=BB6_8 Depth=1
	s_or_b64 exec, exec, s[10:11]
	s_andn2_saveexec_b64 s[6:7], s[6:7]
	s_cbranch_execz .LBB6_10
.LBB6_23:                               ;   in Loop: Header=BB6_8 Depth=1
	v_cmp_eq_u32_e32 vcc, 1, v18
	s_and_saveexec_b64 s[10:11], vcc
; %bb.24:                               ;   in Loop: Header=BB6_8 Depth=1
	v_mov_b32_e32 v2, v3
	v_mov_b32_e32 v3, v4
	;; [unrolled: 1-line block ×4, first 2 shown]
; %bb.25:                               ;   in Loop: Header=BB6_8 Depth=1
	s_or_b64 exec, exec, s[10:11]
	s_or_b64 exec, exec, s[6:7]
	v_cmp_gt_i64_e32 vcc, s[0:1], v[16:17]
	s_and_saveexec_b64 s[6:7], vcc
	s_cbranch_execnz .LBB6_11
	s_branch .LBB6_12
.LBB6_26:
	s_endpgm
.LBB6_27:
                                        ; implicit-def: $sgpr8_sgpr9
	s_andn2_b64 vcc, exec, s[2:3]
	s_cbranch_vccz .LBB6_4
	s_branch .LBB6_5
	.section	.rodata,"a",@progbits
	.p2align	6, 0x0
	.amdhsa_kernel _ZN2at6native12_GLOBAL__N_143distribution_elementwise_grid_stride_kernelIfLi4EZNS0_9templates4cuda21uniform_and_transformIafPNS_17CUDAGeneratorImplEZZZNS4_16geometric_kernelIS7_EEvRNS_18TensorIteratorBaseEdT_ENKUlvE_clEvENKUlvE0_clEvEUlfE_EEvSA_T1_T2_EUlP25hiprandStatePhilox4_32_10E0_ZNS1_27distribution_nullary_kernelIaf15HIP_vector_typeIfLj4EES7_SJ_SE_EEvSA_SG_RKT3_T4_EUlifE_EEvlNS_15PhiloxCudaStateESF_SG_
		.amdhsa_group_segment_fixed_size 0
		.amdhsa_private_segment_fixed_size 0
		.amdhsa_kernarg_size 328
		.amdhsa_user_sgpr_count 6
		.amdhsa_user_sgpr_private_segment_buffer 1
		.amdhsa_user_sgpr_dispatch_ptr 0
		.amdhsa_user_sgpr_queue_ptr 0
		.amdhsa_user_sgpr_kernarg_segment_ptr 1
		.amdhsa_user_sgpr_dispatch_id 0
		.amdhsa_user_sgpr_flat_scratch_init 0
		.amdhsa_user_sgpr_kernarg_preload_length 0
		.amdhsa_user_sgpr_kernarg_preload_offset 0
		.amdhsa_user_sgpr_private_segment_size 0
		.amdhsa_uses_dynamic_stack 0
		.amdhsa_system_sgpr_private_segment_wavefront_offset 0
		.amdhsa_system_sgpr_workgroup_id_x 1
		.amdhsa_system_sgpr_workgroup_id_y 0
		.amdhsa_system_sgpr_workgroup_id_z 0
		.amdhsa_system_sgpr_workgroup_info 0
		.amdhsa_system_vgpr_workitem_id 0
		.amdhsa_next_free_vgpr 50
		.amdhsa_next_free_sgpr 26
		.amdhsa_accum_offset 52
		.amdhsa_reserve_vcc 1
		.amdhsa_reserve_flat_scratch 0
		.amdhsa_float_round_mode_32 0
		.amdhsa_float_round_mode_16_64 0
		.amdhsa_float_denorm_mode_32 3
		.amdhsa_float_denorm_mode_16_64 3
		.amdhsa_dx10_clamp 1
		.amdhsa_ieee_mode 1
		.amdhsa_fp16_overflow 0
		.amdhsa_tg_split 0
		.amdhsa_exception_fp_ieee_invalid_op 0
		.amdhsa_exception_fp_denorm_src 0
		.amdhsa_exception_fp_ieee_div_zero 0
		.amdhsa_exception_fp_ieee_overflow 0
		.amdhsa_exception_fp_ieee_underflow 0
		.amdhsa_exception_fp_ieee_inexact 0
		.amdhsa_exception_int_div_zero 0
	.end_amdhsa_kernel
	.section	.text._ZN2at6native12_GLOBAL__N_143distribution_elementwise_grid_stride_kernelIfLi4EZNS0_9templates4cuda21uniform_and_transformIafPNS_17CUDAGeneratorImplEZZZNS4_16geometric_kernelIS7_EEvRNS_18TensorIteratorBaseEdT_ENKUlvE_clEvENKUlvE0_clEvEUlfE_EEvSA_T1_T2_EUlP25hiprandStatePhilox4_32_10E0_ZNS1_27distribution_nullary_kernelIaf15HIP_vector_typeIfLj4EES7_SJ_SE_EEvSA_SG_RKT3_T4_EUlifE_EEvlNS_15PhiloxCudaStateESF_SG_,"axG",@progbits,_ZN2at6native12_GLOBAL__N_143distribution_elementwise_grid_stride_kernelIfLi4EZNS0_9templates4cuda21uniform_and_transformIafPNS_17CUDAGeneratorImplEZZZNS4_16geometric_kernelIS7_EEvRNS_18TensorIteratorBaseEdT_ENKUlvE_clEvENKUlvE0_clEvEUlfE_EEvSA_T1_T2_EUlP25hiprandStatePhilox4_32_10E0_ZNS1_27distribution_nullary_kernelIaf15HIP_vector_typeIfLj4EES7_SJ_SE_EEvSA_SG_RKT3_T4_EUlifE_EEvlNS_15PhiloxCudaStateESF_SG_,comdat
.Lfunc_end6:
	.size	_ZN2at6native12_GLOBAL__N_143distribution_elementwise_grid_stride_kernelIfLi4EZNS0_9templates4cuda21uniform_and_transformIafPNS_17CUDAGeneratorImplEZZZNS4_16geometric_kernelIS7_EEvRNS_18TensorIteratorBaseEdT_ENKUlvE_clEvENKUlvE0_clEvEUlfE_EEvSA_T1_T2_EUlP25hiprandStatePhilox4_32_10E0_ZNS1_27distribution_nullary_kernelIaf15HIP_vector_typeIfLj4EES7_SJ_SE_EEvSA_SG_RKT3_T4_EUlifE_EEvlNS_15PhiloxCudaStateESF_SG_, .Lfunc_end6-_ZN2at6native12_GLOBAL__N_143distribution_elementwise_grid_stride_kernelIfLi4EZNS0_9templates4cuda21uniform_and_transformIafPNS_17CUDAGeneratorImplEZZZNS4_16geometric_kernelIS7_EEvRNS_18TensorIteratorBaseEdT_ENKUlvE_clEvENKUlvE0_clEvEUlfE_EEvSA_T1_T2_EUlP25hiprandStatePhilox4_32_10E0_ZNS1_27distribution_nullary_kernelIaf15HIP_vector_typeIfLj4EES7_SJ_SE_EEvSA_SG_RKT3_T4_EUlifE_EEvlNS_15PhiloxCudaStateESF_SG_
                                        ; -- End function
	.section	.AMDGPU.csdata,"",@progbits
; Kernel info:
; codeLenInByte = 3612
; NumSgprs: 30
; NumVgprs: 50
; NumAgprs: 0
; TotalNumVgprs: 50
; ScratchSize: 0
; MemoryBound: 0
; FloatMode: 240
; IeeeMode: 1
; LDSByteSize: 0 bytes/workgroup (compile time only)
; SGPRBlocks: 3
; VGPRBlocks: 6
; NumSGPRsForWavesPerEU: 30
; NumVGPRsForWavesPerEU: 50
; AccumOffset: 52
; Occupancy: 8
; WaveLimiterHint : 0
; COMPUTE_PGM_RSRC2:SCRATCH_EN: 0
; COMPUTE_PGM_RSRC2:USER_SGPR: 6
; COMPUTE_PGM_RSRC2:TRAP_HANDLER: 0
; COMPUTE_PGM_RSRC2:TGID_X_EN: 1
; COMPUTE_PGM_RSRC2:TGID_Y_EN: 0
; COMPUTE_PGM_RSRC2:TGID_Z_EN: 0
; COMPUTE_PGM_RSRC2:TIDIG_COMP_CNT: 0
; COMPUTE_PGM_RSRC3_GFX90A:ACCUM_OFFSET: 12
; COMPUTE_PGM_RSRC3_GFX90A:TG_SPLIT: 0
	.section	.text._ZN2at6native12_GLOBAL__N_143distribution_elementwise_grid_stride_kernelIfLi4EZNS0_9templates4cuda21uniform_and_transformIafPNS_17CUDAGeneratorImplEZZZNS4_16geometric_kernelIS7_EEvRNS_18TensorIteratorBaseEdT_ENKUlvE_clEvENKUlvE0_clEvEUlfE_EEvSA_T1_T2_EUlP25hiprandStatePhilox4_32_10E0_ZNS1_27distribution_nullary_kernelIaf15HIP_vector_typeIfLj4EES7_SJ_SE_EEvSA_SG_RKT3_T4_EUlifE0_EEvlNS_15PhiloxCudaStateESF_SG_,"axG",@progbits,_ZN2at6native12_GLOBAL__N_143distribution_elementwise_grid_stride_kernelIfLi4EZNS0_9templates4cuda21uniform_and_transformIafPNS_17CUDAGeneratorImplEZZZNS4_16geometric_kernelIS7_EEvRNS_18TensorIteratorBaseEdT_ENKUlvE_clEvENKUlvE0_clEvEUlfE_EEvSA_T1_T2_EUlP25hiprandStatePhilox4_32_10E0_ZNS1_27distribution_nullary_kernelIaf15HIP_vector_typeIfLj4EES7_SJ_SE_EEvSA_SG_RKT3_T4_EUlifE0_EEvlNS_15PhiloxCudaStateESF_SG_,comdat
	.globl	_ZN2at6native12_GLOBAL__N_143distribution_elementwise_grid_stride_kernelIfLi4EZNS0_9templates4cuda21uniform_and_transformIafPNS_17CUDAGeneratorImplEZZZNS4_16geometric_kernelIS7_EEvRNS_18TensorIteratorBaseEdT_ENKUlvE_clEvENKUlvE0_clEvEUlfE_EEvSA_T1_T2_EUlP25hiprandStatePhilox4_32_10E0_ZNS1_27distribution_nullary_kernelIaf15HIP_vector_typeIfLj4EES7_SJ_SE_EEvSA_SG_RKT3_T4_EUlifE0_EEvlNS_15PhiloxCudaStateESF_SG_ ; -- Begin function _ZN2at6native12_GLOBAL__N_143distribution_elementwise_grid_stride_kernelIfLi4EZNS0_9templates4cuda21uniform_and_transformIafPNS_17CUDAGeneratorImplEZZZNS4_16geometric_kernelIS7_EEvRNS_18TensorIteratorBaseEdT_ENKUlvE_clEvENKUlvE0_clEvEUlfE_EEvSA_T1_T2_EUlP25hiprandStatePhilox4_32_10E0_ZNS1_27distribution_nullary_kernelIaf15HIP_vector_typeIfLj4EES7_SJ_SE_EEvSA_SG_RKT3_T4_EUlifE0_EEvlNS_15PhiloxCudaStateESF_SG_
	.p2align	8
	.type	_ZN2at6native12_GLOBAL__N_143distribution_elementwise_grid_stride_kernelIfLi4EZNS0_9templates4cuda21uniform_and_transformIafPNS_17CUDAGeneratorImplEZZZNS4_16geometric_kernelIS7_EEvRNS_18TensorIteratorBaseEdT_ENKUlvE_clEvENKUlvE0_clEvEUlfE_EEvSA_T1_T2_EUlP25hiprandStatePhilox4_32_10E0_ZNS1_27distribution_nullary_kernelIaf15HIP_vector_typeIfLj4EES7_SJ_SE_EEvSA_SG_RKT3_T4_EUlifE0_EEvlNS_15PhiloxCudaStateESF_SG_,@function
_ZN2at6native12_GLOBAL__N_143distribution_elementwise_grid_stride_kernelIfLi4EZNS0_9templates4cuda21uniform_and_transformIafPNS_17CUDAGeneratorImplEZZZNS4_16geometric_kernelIS7_EEvRNS_18TensorIteratorBaseEdT_ENKUlvE_clEvENKUlvE0_clEvEUlfE_EEvSA_T1_T2_EUlP25hiprandStatePhilox4_32_10E0_ZNS1_27distribution_nullary_kernelIaf15HIP_vector_typeIfLj4EES7_SJ_SE_EEvSA_SG_RKT3_T4_EUlifE0_EEvlNS_15PhiloxCudaStateESF_SG_: ; @_ZN2at6native12_GLOBAL__N_143distribution_elementwise_grid_stride_kernelIfLi4EZNS0_9templates4cuda21uniform_and_transformIafPNS_17CUDAGeneratorImplEZZZNS4_16geometric_kernelIS7_EEvRNS_18TensorIteratorBaseEdT_ENKUlvE_clEvENKUlvE0_clEvEUlfE_EEvSA_T1_T2_EUlP25hiprandStatePhilox4_32_10E0_ZNS1_27distribution_nullary_kernelIaf15HIP_vector_typeIfLj4EES7_SJ_SE_EEvSA_SG_RKT3_T4_EUlifE0_EEvlNS_15PhiloxCudaStateESF_SG_
; %bb.0:
	s_load_dword s2, s[4:5], 0x20
	s_load_dwordx2 s[0:1], s[4:5], 0x10
	s_load_dwordx4 s[24:27], s[4:5], 0x0
	s_waitcnt lgkmcnt(0)
	s_bitcmp0_b32 s2, 0
	s_mov_b32 s2, 0
	v_pk_mov_b32 v[2:3], s[0:1], s[0:1] op_sel:[0,1]
	v_pk_mov_b32 v[12:13], s[26:27], s[26:27] op_sel:[0,1]
	s_cbranch_scc1 .LBB7_2
; %bb.1:
	v_pk_mov_b32 v[2:3], s[0:1], s[0:1] op_sel:[0,1]
	flat_load_dwordx2 v[2:3], v[2:3]
	v_pk_mov_b32 v[4:5], s[26:27], s[26:27] op_sel:[0,1]
	flat_load_dwordx2 v[12:13], v[4:5]
	s_load_dwordx2 s[0:1], s[4:5], 0x18
	s_waitcnt lgkmcnt(0)
	v_mov_b32_e32 v1, s1
	s_waitcnt vmcnt(0)
	v_add_co_u32_e32 v2, vcc, s0, v2
	v_addc_co_u32_e32 v3, vcc, v3, v1, vcc
.LBB7_2:
	s_load_dword s0, s[4:5], 0x154
	s_load_dword s7, s[4:5], 0x148
	s_waitcnt lgkmcnt(0)
	s_and_b32 s8, s0, 0xffff
	s_add_u32 s9, s24, -1
	s_mul_i32 s33, s7, s8
	s_addc_u32 s3, s25, -1
	s_lshl_b32 s58, s33, 2
	s_cmp_lg_u64 s[2:3], 0
	s_mov_b64 s[0:1], -1
	s_cbranch_scc0 .LBB7_83
; %bb.3:
	v_cvt_f32_u32_e32 v1, s58
	v_cvt_f32_ubyte0_e32 v4, 0
	s_sub_u32 s2, 0, s58
	s_subb_u32 s10, 0, 0
	v_madmk_f32 v1, v4, 0x4f800000, v1
	v_rcp_f32_e32 v1, v1
	v_mul_f32_e32 v1, 0x5f7ffffc, v1
	v_mul_f32_e32 v4, 0x2f800000, v1
	v_trunc_f32_e32 v4, v4
	v_madmk_f32 v1, v4, 0xcf800000, v1
	v_cvt_u32_f32_e32 v4, v4
	v_cvt_u32_f32_e32 v1, v1
	v_readfirstlane_b32 s11, v4
	v_readfirstlane_b32 s12, v1
	s_mul_i32 s13, s2, s11
	s_mul_hi_u32 s15, s2, s12
	s_mul_i32 s14, s10, s12
	s_add_i32 s13, s15, s13
	s_add_i32 s13, s13, s14
	s_mul_i32 s16, s2, s12
	s_mul_hi_u32 s14, s12, s13
	s_mul_i32 s15, s12, s13
	s_mul_hi_u32 s12, s12, s16
	s_add_u32 s12, s12, s15
	s_addc_u32 s14, 0, s14
	s_mul_hi_u32 s17, s11, s16
	s_mul_i32 s16, s11, s16
	s_add_u32 s12, s12, s16
	s_mul_hi_u32 s15, s11, s13
	s_addc_u32 s12, s14, s17
	s_addc_u32 s14, s15, 0
	s_mul_i32 s13, s11, s13
	s_add_u32 s12, s12, s13
	s_addc_u32 s13, 0, s14
	v_add_co_u32_e32 v1, vcc, s12, v1
	s_cmp_lg_u64 vcc, 0
	s_addc_u32 s11, s11, s13
	v_readfirstlane_b32 s13, v1
	s_mul_i32 s12, s2, s11
	s_mul_hi_u32 s14, s2, s13
	s_add_i32 s12, s14, s12
	s_mul_i32 s10, s10, s13
	s_add_i32 s12, s12, s10
	s_mul_i32 s2, s2, s13
	s_mul_hi_u32 s14, s11, s2
	s_mul_i32 s15, s11, s2
	s_mul_i32 s17, s13, s12
	s_mul_hi_u32 s2, s13, s2
	s_mul_hi_u32 s16, s13, s12
	s_add_u32 s2, s2, s17
	s_addc_u32 s13, 0, s16
	s_add_u32 s2, s2, s15
	s_mul_hi_u32 s10, s11, s12
	s_addc_u32 s2, s13, s14
	s_addc_u32 s10, s10, 0
	s_mul_i32 s12, s11, s12
	s_add_u32 s2, s2, s12
	s_addc_u32 s10, 0, s10
	v_add_co_u32_e32 v1, vcc, s2, v1
	s_cmp_lg_u64 vcc, 0
	s_addc_u32 s12, s11, s10
	s_ashr_i32 s10, s3, 31
	s_add_u32 s2, s9, s10
	s_mov_b32 s11, s10
	s_addc_u32 s3, s3, s10
	s_xor_b64 s[2:3], s[2:3], s[10:11]
	v_readfirstlane_b32 s15, v1
	s_mul_i32 s14, s2, s12
	s_mul_hi_u32 s16, s2, s15
	s_mul_hi_u32 s13, s2, s12
	s_add_u32 s14, s16, s14
	s_addc_u32 s13, 0, s13
	s_mul_hi_u32 s17, s3, s15
	s_mul_i32 s15, s3, s15
	s_add_u32 s14, s14, s15
	s_mul_hi_u32 s16, s3, s12
	s_addc_u32 s13, s13, s17
	s_addc_u32 s14, s16, 0
	s_mul_i32 s12, s3, s12
	s_add_u32 s12, s13, s12
	s_addc_u32 s13, 0, s14
	s_add_u32 s14, s12, 1
	s_addc_u32 s15, s13, 0
	s_add_u32 s16, s12, 2
	s_mul_i32 s18, s58, s13
	s_mul_hi_u32 s19, s58, s12
	s_addc_u32 s17, s13, 0
	s_add_i32 s19, s19, s18
	s_mul_i32 s18, s58, s12
	v_mov_b32_e32 v1, s18
	v_sub_co_u32_e32 v1, vcc, s2, v1
	s_cmp_lg_u64 vcc, 0
	s_subb_u32 s2, s3, s19
	v_subrev_co_u32_e32 v4, vcc, s58, v1
	s_cmp_lg_u64 vcc, 0
	s_subb_u32 s3, s2, 0
	v_readfirstlane_b32 s18, v4
	s_cmp_ge_u32 s18, s58
	s_cselect_b32 s18, -1, 0
	s_cmp_eq_u32 s3, 0
	s_cselect_b32 s3, s18, -1
	s_cmp_lg_u32 s3, 0
	s_cselect_b32 s3, s17, s15
	v_readfirstlane_b32 s15, v1
	s_cselect_b32 s14, s16, s14
	s_cmp_ge_u32 s15, s58
	s_cselect_b32 s15, -1, 0
	s_cmp_eq_u32 s2, 0
	s_cselect_b32 s2, s15, -1
	s_cmp_lg_u32 s2, 0
	s_cselect_b32 s3, s3, s13
	s_cselect_b32 s2, s14, s12
	s_xor_b64 s[2:3], s[2:3], s[10:11]
	s_sub_u32 s2, s2, s10
	s_subb_u32 s3, s3, s10
	s_cbranch_execnz .LBB7_5
.LBB7_4:
	v_cvt_f32_u32_e32 v1, s58
	s_sub_i32 s0, 0, s58
	s_mov_b32 s3, 0
	v_rcp_iflag_f32_e32 v1, v1
	v_mul_f32_e32 v1, 0x4f7ffffe, v1
	v_cvt_u32_f32_e32 v1, v1
	v_readfirstlane_b32 s1, v1
	s_mul_i32 s0, s0, s1
	s_mul_hi_u32 s0, s1, s0
	s_add_i32 s1, s1, s0
	s_mul_hi_u32 s0, s9, s1
	s_mul_i32 s2, s0, s58
	s_sub_i32 s2, s9, s2
	s_add_i32 s1, s0, 1
	s_sub_i32 s9, s2, s58
	s_cmp_ge_u32 s2, s58
	s_cselect_b32 s0, s1, s0
	s_cselect_b32 s2, s9, s2
	s_add_i32 s1, s0, 1
	s_cmp_ge_u32 s2, s58
	s_cselect_b32 s2, s1, s0
.LBB7_5:
	v_mov_b32_e32 v1, 0
	v_mov_b32_e32 v4, s6
	v_mad_u64_u32 v[14:15], s[0:1], s8, v4, v[0:1]
	s_add_u32 s0, s2, 1
	s_addc_u32 s1, s3, 0
	s_mul_hi_u32 s2, s7, s8
	s_mul_i32 s1, s33, s1
	s_mul_hi_u32 s3, s33, s0
	s_add_i32 s1, s3, s1
	s_mul_i32 s2, s2, s0
	s_add_i32 s1, s1, s2
	s_mul_i32 s0, s33, s0
	s_lshl_b64 s[26:27], s[0:1], 2
	v_cmp_gt_i64_e32 vcc, s[26:27], v[14:15]
	s_and_saveexec_b64 s[0:1], vcc
	s_cbranch_execz .LBB7_82
; %bb.6:
	s_mov_b32 s0, 0x5384540f
	v_mov_b32_e32 v0, v13
	v_add_co_u32_e32 v22, vcc, s0, v12
	s_mov_b32 s0, 0x646e171e
	v_add_co_u32_e32 v23, vcc, s0, v0
	s_mov_b32 s0, 0x1715609d
	;; [unrolled: 2-line block ×6, first 2 shown]
	v_alignbit_b32 v29, v3, v2, 2
	s_mov_b32 s60, 0xd2511f53
	v_add_co_u32_e32 v28, vcc, s0, v12
	v_mad_u64_u32 v[4:5], s[0:1], v29, s60, 0
	v_xor_b32_e32 v1, v5, v13
	v_xor_b32_e32 v1, v1, v15
	s_mov_b32 s61, 0xcd9e8d57
	v_mad_u64_u32 v[6:7], s[0:1], v1, s61, 0
	v_xor_b32_e32 v1, v28, v7
	v_mad_u64_u32 v[8:9], s[0:1], v14, s61, 0
	v_and_b32_e32 v18, 3, v2
	v_xor_b32_e32 v1, v1, v8
	v_xor_b32_e32 v2, v12, v9
	v_lshrrev_b32_e32 v30, 2, v3
	v_mad_u64_u32 v[10:11], s[0:1], v1, s60, 0
	v_xor_b32_e32 v2, v2, v30
	v_xor_b32_e32 v1, v27, v11
	v_mad_u64_u32 v[2:3], s[0:1], v2, s60, 0
	v_xor_b32_e32 v1, v1, v2
	v_mad_u64_u32 v[8:9], s[0:1], v1, s61, 0
	s_mov_b32 s0, 0xbb67ae85
	v_add_co_u32_e32 v31, vcc, s0, v0
	v_xor_b32_e32 v2, v31, v3
	v_xor_b32_e32 v2, v2, v4
	v_xor_b32_e32 v1, v26, v9
	v_mad_u64_u32 v[2:3], s[0:1], v2, s61, 0
	v_xor_b32_e32 v1, v1, v2
	v_mad_u64_u32 v[4:5], s[0:1], v1, s60, 0
	s_mov_b32 s0, 0x3c6ef372
	v_add_co_u32_e32 v32, vcc, s0, v12
	v_xor_b32_e32 v2, v32, v3
	;; [unrolled: 8-line block ×6, first 2 shown]
	v_add_co_u32_e32 v21, vcc, 0xdb3d7428, v0
	v_xor_b32_e32 v2, v2, v6
	v_xor_b32_e32 v1, v21, v5
	v_mad_u64_u32 v[2:3], s[0:1], v2, s60, 0
	v_xor_b32_e32 v1, v1, v2
	v_mad_u64_u32 v[6:7], s[0:1], v1, s61, 0
	s_mov_b32 s0, 0x1fd5c5a3
	v_add_co_u32_e32 v37, vcc, s0, v0
	v_xor_b32_e32 v0, v37, v3
	v_xor_b32_e32 v0, v0, v10
	v_mad_u64_u32 v[0:1], s[0:1], v0, s61, 0
	s_mov_b32 s0, 0xf1bbcdc8
	v_add_co_u32_e32 v38, vcc, s0, v12
	s_load_dwordx2 s[46:47], s[4:5], 0xf4
	s_load_dwordx4 s[28:31], s[4:5], 0x138
	v_xor_b32_e32 v1, v38, v1
	v_xor_b32_e32 v1, v1, v8
	v_mad_u64_u32 v[8:9], s[0:1], v1, s60, 0
	v_add_u32_e32 v20, 0x96a522ad, v13
	v_xor_b32_e32 v1, v9, v4
	v_xor_b32_e32 v2, v20, v1
	v_mov_b32_e32 v1, v6
	s_waitcnt lgkmcnt(0)
	v_cvt_f32_f64_e32 v6, s[30:31]
	v_xor_b32_e32 v0, v7, v0
	v_sub_f32_e32 v7, 1.0, v6
	v_add_f32_e32 v4, -1.0, v7
	v_sub_f32_e32 v5, v4, v7
	v_add_f32_e32 v5, 1.0, v5
	v_sub_f32_e64 v4, -v6, v4
	v_mov_b32_e32 v3, v8
	v_add_f32_e32 v8, v4, v5
	v_frexp_mant_f32_e32 v9, v7
	s_mov_b32 s0, 0x3f2aaaab
	v_cvt_f64_f32_e32 v[4:5], v7
	v_frexp_exp_i32_f64_e32 v4, v[4:5]
	v_cmp_gt_f32_e32 vcc, s0, v9
	v_subbrev_co_u32_e32 v4, vcc, 0, v4, vcc
	v_sub_u32_e32 v5, 0, v4
	v_ldexp_f32 v7, v7, v5
	v_ldexp_f32 v5, v8, v5
	v_add_f32_e32 v8, -1.0, v7
	v_add_f32_e32 v11, 1.0, v7
	v_add_f32_e32 v9, 1.0, v8
	v_add_f32_e32 v16, -1.0, v11
	v_sub_f32_e32 v9, v7, v9
	v_sub_f32_e32 v7, v7, v16
	v_add_f32_e32 v9, v5, v9
	v_add_f32_e32 v5, v5, v7
	;; [unrolled: 1-line block ×3, first 2 shown]
	v_rcp_f32_e32 v16, v7
	v_add_f32_e32 v10, v8, v9
	v_sub_f32_e32 v8, v10, v8
	v_sub_f32_e32 v8, v9, v8
	v_sub_f32_e32 v9, v7, v11
	v_sub_f32_e32 v5, v5, v9
	v_mul_f32_e32 v9, v10, v16
	v_mul_f32_e32 v11, v7, v9
	v_fma_f32 v17, v9, v7, -v11
	v_fmac_f32_e32 v17, v9, v5
	v_add_f32_e32 v39, v11, v17
	v_sub_f32_e32 v40, v10, v39
	v_sub_f32_e32 v10, v10, v40
	;; [unrolled: 1-line block ×4, first 2 shown]
	v_add_f32_e32 v8, v8, v10
	v_sub_f32_e32 v10, v11, v17
	v_add_f32_e32 v8, v10, v8
	v_add_f32_e32 v10, v40, v8
	v_mul_f32_e32 v11, v16, v10
	v_mul_f32_e32 v17, v7, v11
	v_fma_f32 v7, v11, v7, -v17
	v_fmac_f32_e32 v7, v11, v5
	v_sub_f32_e32 v5, v40, v10
	v_add_f32_e32 v5, v8, v5
	v_add_f32_e32 v8, v17, v7
	v_sub_f32_e32 v39, v10, v8
	v_sub_f32_e32 v10, v10, v39
	;; [unrolled: 1-line block ×4, first 2 shown]
	v_add_f32_e32 v5, v5, v8
	v_sub_f32_e32 v7, v17, v7
	v_add_f32_e32 v5, v7, v5
	v_add_f32_e32 v7, v9, v11
	;; [unrolled: 1-line block ×3, first 2 shown]
	v_sub_f32_e32 v8, v7, v9
	v_mul_f32_e32 v5, v16, v5
	v_sub_f32_e32 v8, v11, v8
	v_add_f32_e32 v5, v8, v5
	v_cvt_f32_i32_e32 v4, v4
	v_add_f32_e32 v8, v7, v5
	v_mul_f32_e32 v9, v8, v8
	v_mov_b32_e32 v10, 0x3ecc95a3
	v_fmac_f32_e32 v10, 0x3e9b6dac, v9
	v_mov_b32_e32 v11, 0x3f2aaada
	v_fmac_f32_e32 v11, v9, v10
	s_mov_b32 s0, 0x3f317218
	v_mul_f32_e32 v10, 0x3f317218, v4
	v_fma_f32 v16, v4, s0, -v10
	v_fmac_f32_e32 v16, 0xb102e308, v4
	v_sub_f32_e32 v4, v8, v7
	v_sub_f32_e32 v4, v5, v4
	v_add_f32_e32 v5, v10, v16
	v_sub_f32_e32 v7, v5, v10
	v_ldexp_f32 v10, v8, 1
	v_mul_f32_e32 v8, v8, v9
	v_mul_f32_e32 v8, v8, v11
	v_add_f32_e32 v9, v10, v8
	v_sub_f32_e32 v10, v9, v10
	v_ldexp_f32 v4, v4, 1
	v_sub_f32_e32 v8, v8, v10
	v_add_f32_e32 v4, v4, v8
	v_add_f32_e32 v8, v9, v4
	v_sub_f32_e32 v9, v8, v9
	s_load_dwordx8 s[8:15], s[4:5], 0x30
	v_sub_f32_e32 v4, v4, v9
	v_add_f32_e32 v9, v5, v8
	v_sub_f32_e32 v10, v9, v5
	v_sub_f32_e32 v11, v9, v10
	;; [unrolled: 1-line block ×5, first 2 shown]
	s_add_u32 s34, s4, 48
	v_add_f32_e32 v5, v8, v5
	v_add_f32_e32 v8, v7, v4
	s_addc_u32 s35, s5, 0
	s_waitcnt lgkmcnt(0)
	s_add_i32 s2, s8, -1
	v_sub_f32_e32 v10, v8, v7
	s_cmp_gt_u32 s2, 1
	v_sub_f32_e32 v11, v8, v10
	s_cselect_b64 s[40:41], -1, 0
	s_cmp_lg_u32 s8, 0
	v_sub_f32_e32 v7, v7, v11
	v_sub_f32_e32 v4, v4, v10
	v_add_f32_e32 v5, v8, v5
	s_cselect_b64 s[42:43], -1, 0
	s_add_u32 s44, s4, 0xf4
	v_add_f32_e32 v4, v4, v7
	v_add_f32_e32 v7, v9, v5
	s_addc_u32 s45, s5, 0
	s_min_u32 s3, s2, 15
	v_sub_f32_e32 v8, v7, v9
	s_cmp_gt_u32 s8, 1
	v_sub_f32_e32 v5, v5, v8
	s_cselect_b64 s[48:49], -1, 0
	v_add_f32_e32 v4, v4, v5
	s_mov_b32 s0, 0xff800000
	s_add_i32 s3, s3, 1
	s_mov_b32 s8, s13
	v_add_f32_e32 v4, v7, v4
	v_cmp_eq_f32_e32 vcc, s0, v6
	s_lshl_b32 s13, s33, 1
	s_and_b32 s64, s3, 3
	v_cndmask_b32_e64 v4, v4, -v6, vcc
	v_mov_b32_e32 v5, 0x7fc00000
	v_cmp_nlt_f32_e32 vcc, 1.0, v6
	s_cmp_lg_u32 s2, 2
	v_cndmask_b32_e32 v4, v5, v4, vcc
	v_mov_b32_e32 v5, 0xff800000
	v_cmp_neq_f32_e32 vcc, 1.0, v6
	s_mov_b32 s0, 0x33800000
	s_cselect_b64 s[30:31], -1, 0
	s_and_b32 s65, s3, 28
	s_mov_b32 s59, 0
	v_add_u32_e32 v19, 0x8ff34781, v12
	v_cndmask_b32_e32 v4, v5, v4, vcc
	v_cmp_lt_f32_e64 s[0:1], |v6|, s0
	s_cmp_lg_u32 s64, 0
	v_xor_b32_e32 v0, v19, v0
	v_cndmask_b32_e64 v39, v4, -v6, s[0:1]
	s_mov_b32 s15, s59
	s_mul_i32 s62, s33, 3
	s_mov_b32 s63, s59
	s_mov_b64 s[50:51], 0
	s_cselect_b64 s[52:53], -1, 0
	s_mov_b32 s66, 0x800000
	s_mov_b32 s67, 0x3f317217
	;; [unrolled: 1-line block ×3, first 2 shown]
	v_mov_b32_e32 v40, 0x4f800000
	v_mov_b32_e32 v41, 0x41b17218
	;; [unrolled: 1-line block ×4, first 2 shown]
	s_branch .LBB7_9
.LBB7_7:                                ;   in Loop: Header=BB7_9 Depth=1
	v_cvt_f32_u32_e32 v1, v3
	v_mov_b32_e32 v2, 0x2f800000
	v_fmac_f32_e32 v2, 0x2f800000, v1
	v_cmp_gt_f32_e32 vcc, s66, v2
	v_cndmask_b32_e32 v1, 1.0, v40, vcc
	v_mul_f32_e32 v1, v2, v1
	v_log_f32_e32 v1, v1
	v_cndmask_b32_e32 v2, 0, v41, vcc
	v_mul_f32_e32 v3, 0x3f317217, v1
	v_fma_f32 v7, v1, s67, -v3
	v_fmac_f32_e32 v7, 0x3377d1cf, v1
	v_add_f32_e32 v3, v3, v7
	v_cmp_lt_f32_e64 vcc, |v1|, s68
	v_cndmask_b32_e32 v1, v1, v3, vcc
	v_sub_f32_e32 v1, v1, v2
	v_div_scale_f32 v2, s[0:1], v39, v39, v1
	v_rcp_f32_e32 v3, v2
	v_div_scale_f32 v7, vcc, v1, v39, v1
	v_fma_f32 v8, -v2, v3, 1.0
	v_fmac_f32_e32 v3, v8, v3
	v_mul_f32_e32 v8, v7, v3
	v_fma_f32 v9, -v2, v8, v7
	v_fmac_f32_e32 v8, v9, v3
	v_fma_f32 v2, -v2, v8, v7
	v_div_fmas_f32 v2, v2, v3, v8
	v_div_fixup_f32 v1, v2, v39, v1
	v_ceil_f32_e32 v1, v1
	v_cvt_i32_f32_e32 v1, v1
	global_store_byte v0, v1, s[28:29]
.LBB7_8:                                ;   in Loop: Header=BB7_9 Depth=1
	s_or_b64 exec, exec, s[36:37]
	v_add_co_u32_e32 v14, vcc, s58, v14
	v_addc_co_u32_e32 v15, vcc, 0, v15, vcc
	v_mov_b32_e32 v7, v16
	v_cmp_le_i64_e32 vcc, s[26:27], v[14:15]
	v_pk_mov_b32 v[0:1], v[4:5], v[4:5] op_sel:[0,1]
	s_or_b64 s[50:51], vcc, s[50:51]
	v_pk_mov_b32 v[2:3], v[6:7], v[6:7] op_sel:[0,1]
	s_barrier
	s_andn2_b64 exec, exec, s[50:51]
	s_cbranch_execz .LBB7_82
.LBB7_9:                                ; =>This Loop Header: Depth=1
                                        ;     Child Loop BB7_24 Depth 2
                                        ;     Child Loop BB7_30 Depth 2
	;; [unrolled: 1-line block ×8, first 2 shown]
	v_add_co_u32_e32 v29, vcc, 1, v29
	v_cndmask_b32_e64 v4, 0, 1, vcc
	v_addc_co_u32_e32 v30, vcc, 0, v30, vcc
	v_cmp_eq_u32_e32 vcc, 0, v30
	v_cndmask_b32_e32 v4, 0, v4, vcc
	v_add_u32_e32 v42, v4, v42
	v_cmp_eq_u32_e32 vcc, 0, v42
	v_cndmask_b32_e32 v4, 0, v4, vcc
	v_add_u32_e32 v43, v4, v43
	v_mad_u64_u32 v[4:5], s[0:1], v29, s60, 0
	v_mad_u64_u32 v[6:7], s[0:1], v42, s61, 0
	v_xor_b32_e32 v5, v5, v13
	v_xor_b32_e32 v7, v7, v12
	v_xor_b32_e32 v5, v43, v5
	v_xor_b32_e32 v7, v30, v7
	v_mad_u64_u32 v[10:11], s[0:1], v5, s61, 0
	v_mad_u64_u32 v[8:9], s[0:1], v7, s60, 0
	v_xor_b32_e32 v5, v28, v11
	v_xor_b32_e32 v5, v5, v6
	v_xor_b32_e32 v6, v31, v9
	v_xor_b32_e32 v6, v6, v4
	;; [unrolled: 6-line block ×10, first 2 shown]
	v_mov_b32_e32 v5, v10
	v_mov_b32_e32 v6, v11
	v_cmp_lt_i32_e32 vcc, 1, v18
	s_and_saveexec_b64 s[0:1], vcc
	s_xor_b64 s[0:1], exec, s[0:1]
	s_cbranch_execz .LBB7_15
; %bb.10:                               ;   in Loop: Header=BB7_9 Depth=1
	v_cmp_lt_i32_e32 vcc, 2, v18
	s_and_saveexec_b64 s[2:3], vcc
	s_xor_b64 s[2:3], exec, s[2:3]
; %bb.11:                               ;   in Loop: Header=BB7_9 Depth=1
	v_mov_b32_e32 v8, v3
	v_mov_b32_e32 v9, v4
	v_pk_mov_b32 v[0:1], v[8:9], v[8:9] op_sel:[0,1]
	v_pk_mov_b32 v[2:3], v[10:11], v[10:11] op_sel:[0,1]
                                        ; implicit-def: $vgpr10_vgpr11
; %bb.12:                               ;   in Loop: Header=BB7_9 Depth=1
	s_andn2_saveexec_b64 s[2:3], s[2:3]
; %bb.13:                               ;   in Loop: Header=BB7_9 Depth=1
	v_mov_b32_e32 v0, v2
	v_mov_b32_e32 v1, v3
	;; [unrolled: 1-line block ×4, first 2 shown]
; %bb.14:                               ;   in Loop: Header=BB7_9 Depth=1
	s_or_b64 exec, exec, s[2:3]
.LBB7_15:                               ;   in Loop: Header=BB7_9 Depth=1
	s_andn2_saveexec_b64 s[0:1], s[0:1]
	s_cbranch_execz .LBB7_19
; %bb.16:                               ;   in Loop: Header=BB7_9 Depth=1
	v_cmp_eq_u32_e32 vcc, 1, v18
	s_and_saveexec_b64 s[2:3], vcc
; %bb.17:                               ;   in Loop: Header=BB7_9 Depth=1
	v_mov_b32_e32 v0, v1
	v_mov_b32_e32 v1, v2
	;; [unrolled: 1-line block ×4, first 2 shown]
; %bb.18:                               ;   in Loop: Header=BB7_9 Depth=1
	s_or_b64 exec, exec, s[2:3]
.LBB7_19:                               ;   in Loop: Header=BB7_9 Depth=1
	s_or_b64 exec, exec, s[0:1]
	v_cndmask_b32_e64 v7, 0, 1, s[40:41]
	v_cmp_gt_i64_e32 vcc, s[24:25], v[14:15]
	v_cmp_ne_u32_e64 s[0:1], 1, v7
	s_and_saveexec_b64 s[2:3], vcc
	s_cbranch_execz .LBB7_35
; %bb.20:                               ;   in Loop: Header=BB7_9 Depth=1
	s_and_b64 vcc, exec, s[0:1]
	s_cbranch_vccnz .LBB7_26
; %bb.21:                               ;   in Loop: Header=BB7_9 Depth=1
	s_andn2_b64 vcc, exec, s[42:43]
	s_cbranch_vccnz .LBB7_27
; %bb.22:                               ;   in Loop: Header=BB7_9 Depth=1
	s_mov_b32 s6, 0
	s_andn2_b64 vcc, exec, s[30:31]
	v_mov_b32_e32 v8, 0
	s_cbranch_vccnz .LBB7_28
; %bb.23:                               ;   in Loop: Header=BB7_9 Depth=1
	s_mov_b32 s69, 0
	v_mov_b32_e32 v8, 0
	s_mov_b64 s[54:55], s[34:35]
	s_mov_b64 s[56:57], s[44:45]
	v_mov_b32_e32 v7, v14
.LBB7_24:                               ;   Parent Loop BB7_9 Depth=1
                                        ; =>  This Inner Loop Header: Depth=2
	s_load_dwordx8 s[16:23], s[54:55], 0x4
	s_load_dwordx4 s[4:7], s[54:55], 0x24
	s_load_dwordx4 s[36:39], s[56:57], 0x0
	s_add_u32 s54, s54, 48
	s_addc_u32 s55, s55, 0
	s_waitcnt lgkmcnt(0)
	v_mul_hi_u32 v9, s17, v7
	v_add_u32_e32 v9, v7, v9
	v_lshrrev_b32_e32 v9, s18, v9
	v_mul_lo_u32 v10, v9, s16
	v_mul_hi_u32 v11, s20, v9
	v_sub_u32_e32 v7, v7, v10
	v_add_u32_e32 v10, v9, v11
	v_lshrrev_b32_e32 v10, s21, v10
	v_mul_lo_u32 v11, v10, s19
	v_mul_hi_u32 v17, s23, v10
	v_sub_u32_e32 v9, v9, v11
	v_add_u32_e32 v11, v10, v17
	v_mul_lo_u32 v7, v7, s36
	v_mul_lo_u32 v9, v9, s37
	v_lshrrev_b32_e32 v11, s4, v11
	v_add3_u32 v8, v7, v8, v9
	v_mul_lo_u32 v7, v11, s22
	v_mul_hi_u32 v9, s6, v11
	v_sub_u32_e32 v7, v10, v7
	v_add_u32_e32 v9, v11, v9
	v_mul_lo_u32 v10, v7, s38
	v_lshrrev_b32_e32 v7, s7, v9
	s_add_i32 s69, s69, 4
	v_mul_lo_u32 v9, v7, s5
	s_add_u32 s56, s56, 16
	v_sub_u32_e32 v9, v11, v9
	s_addc_u32 s57, s57, 0
	v_mul_lo_u32 v9, v9, s39
	s_cmp_lg_u32 s65, s69
	v_add3_u32 v8, v10, v8, v9
	s_cbranch_scc1 .LBB7_24
; %bb.25:                               ;   in Loop: Header=BB7_9 Depth=1
	s_mov_b32 s6, s65
	s_andn2_b64 vcc, exec, s[52:53]
	s_cbranch_vccz .LBB7_29
	s_branch .LBB7_31
.LBB7_26:                               ;   in Loop: Header=BB7_9 Depth=1
                                        ; implicit-def: $vgpr8
	s_branch .LBB7_32
.LBB7_27:                               ;   in Loop: Header=BB7_9 Depth=1
	v_mov_b32_e32 v8, 0
	s_branch .LBB7_31
.LBB7_28:                               ;   in Loop: Header=BB7_9 Depth=1
	v_mov_b32_e32 v7, v14
	s_andn2_b64 vcc, exec, s[52:53]
	s_cbranch_vccnz .LBB7_31
.LBB7_29:                               ;   in Loop: Header=BB7_9 Depth=1
	s_lshl_b32 s4, s6, 2
	s_add_u32 s4, s44, s4
	s_addc_u32 s5, s45, 0
	s_mul_i32 s6, s6, 12
	s_add_u32 s6, s34, s6
	s_addc_u32 s7, s35, 0
	s_mov_b32 s16, s64
.LBB7_30:                               ;   Parent Loop BB7_9 Depth=1
                                        ; =>  This Inner Loop Header: Depth=2
	s_load_dwordx2 s[18:19], s[6:7], 0x4
	s_load_dword s17, s[6:7], 0xc
	s_load_dword s20, s[4:5], 0x0
	s_add_u32 s6, s6, 12
	s_addc_u32 s7, s7, 0
	s_waitcnt lgkmcnt(0)
	v_mul_hi_u32 v9, s19, v7
	v_add_u32_e32 v9, v7, v9
	v_lshrrev_b32_e32 v9, s17, v9
	s_add_u32 s4, s4, 4
	v_mul_lo_u32 v10, v9, s18
	s_addc_u32 s5, s5, 0
	s_add_i32 s16, s16, -1
	v_sub_u32_e32 v10, v7, v10
	s_cmp_lg_u32 s16, 0
	v_mov_b32_e32 v7, v9
	v_mad_u64_u32 v[8:9], s[18:19], v10, s20, v[8:9]
	s_cbranch_scc1 .LBB7_30
.LBB7_31:                               ;   in Loop: Header=BB7_9 Depth=1
	s_cbranch_execnz .LBB7_34
.LBB7_32:                               ;   in Loop: Header=BB7_9 Depth=1
	v_mul_hi_u32 v7, v14, s10
	v_add_u32_e32 v7, v7, v14
	v_lshrrev_b32_e32 v7, s11, v7
	v_mul_lo_u32 v8, v7, s9
	v_sub_u32_e32 v8, v14, v8
	s_andn2_b64 vcc, exec, s[48:49]
	v_mul_lo_u32 v8, v8, s46
	s_cbranch_vccnz .LBB7_34
; %bb.33:                               ;   in Loop: Header=BB7_9 Depth=1
	v_mul_hi_u32 v9, s8, v7
	v_add_u32_e32 v9, v7, v9
	v_lshrrev_b32_e32 v9, s14, v9
	v_mul_lo_u32 v9, v9, s12
	v_sub_u32_e32 v7, v7, v9
	v_mad_u64_u32 v[8:9], s[4:5], v7, s47, v[8:9]
.LBB7_34:                               ;   in Loop: Header=BB7_9 Depth=1
	v_cvt_f32_u32_e32 v0, v0
	v_mov_b32_e32 v7, 0x2f800000
	v_fmac_f32_e32 v7, 0x2f800000, v0
	v_cmp_gt_f32_e32 vcc, s66, v7
	v_cndmask_b32_e32 v0, 1.0, v40, vcc
	v_mul_f32_e32 v0, v7, v0
	v_log_f32_e32 v0, v0
	v_cndmask_b32_e32 v7, 0, v41, vcc
	v_mul_f32_e32 v9, 0x3f317217, v0
	v_fma_f32 v10, v0, s67, -v9
	v_fmac_f32_e32 v10, 0x3377d1cf, v0
	v_add_f32_e32 v9, v9, v10
	v_cmp_lt_f32_e64 vcc, |v0|, s68
	v_cndmask_b32_e32 v0, v0, v9, vcc
	v_sub_f32_e32 v0, v0, v7
	v_div_scale_f32 v7, s[4:5], v39, v39, v0
	v_rcp_f32_e32 v9, v7
	v_div_scale_f32 v10, vcc, v0, v39, v0
	v_fma_f32 v11, -v7, v9, 1.0
	v_fmac_f32_e32 v9, v11, v9
	v_mul_f32_e32 v11, v10, v9
	v_fma_f32 v17, -v7, v11, v10
	v_fmac_f32_e32 v11, v17, v9
	v_fma_f32 v7, -v7, v11, v10
	v_div_fmas_f32 v7, v7, v9, v11
	v_div_fixup_f32 v0, v7, v39, v0
	v_ceil_f32_e32 v0, v0
	v_cvt_i32_f32_e32 v0, v0
	global_store_byte v8, v0, s[28:29]
.LBB7_35:                               ;   in Loop: Header=BB7_9 Depth=1
	s_or_b64 exec, exec, s[2:3]
	v_mov_b32_e32 v0, s59
	v_add_co_u32_e32 v10, vcc, s33, v14
	v_addc_co_u32_e32 v11, vcc, v15, v0, vcc
	v_cmp_gt_i64_e32 vcc, s[24:25], v[10:11]
	s_and_saveexec_b64 s[2:3], vcc
	s_cbranch_execz .LBB7_51
; %bb.36:                               ;   in Loop: Header=BB7_9 Depth=1
	s_and_b64 vcc, exec, s[0:1]
	s_cbranch_vccnz .LBB7_42
; %bb.37:                               ;   in Loop: Header=BB7_9 Depth=1
	s_andn2_b64 vcc, exec, s[42:43]
	s_cbranch_vccnz .LBB7_43
; %bb.38:                               ;   in Loop: Header=BB7_9 Depth=1
	s_mov_b32 s6, 0
	s_andn2_b64 vcc, exec, s[30:31]
	v_mov_b32_e32 v8, 0
	s_cbranch_vccnz .LBB7_44
; %bb.39:                               ;   in Loop: Header=BB7_9 Depth=1
	s_mov_b32 s69, 0
	v_mov_b32_e32 v8, 0
	s_mov_b64 s[54:55], s[34:35]
	s_mov_b64 s[56:57], s[44:45]
	v_mov_b32_e32 v0, v10
.LBB7_40:                               ;   Parent Loop BB7_9 Depth=1
                                        ; =>  This Inner Loop Header: Depth=2
	s_load_dwordx8 s[16:23], s[54:55], 0x4
	s_load_dwordx4 s[4:7], s[54:55], 0x24
	s_load_dwordx4 s[36:39], s[56:57], 0x0
	s_add_u32 s54, s54, 48
	s_addc_u32 s55, s55, 0
	s_waitcnt lgkmcnt(0)
	v_mul_hi_u32 v7, s17, v0
	v_add_u32_e32 v7, v0, v7
	v_lshrrev_b32_e32 v7, s18, v7
	v_mul_lo_u32 v9, v7, s16
	v_mul_hi_u32 v11, s20, v7
	v_sub_u32_e32 v0, v0, v9
	v_add_u32_e32 v9, v7, v11
	v_lshrrev_b32_e32 v9, s21, v9
	v_mul_lo_u32 v11, v9, s19
	v_mul_hi_u32 v17, s23, v9
	v_sub_u32_e32 v7, v7, v11
	v_add_u32_e32 v11, v9, v17
	v_mul_lo_u32 v0, v0, s36
	v_mul_lo_u32 v7, v7, s37
	v_lshrrev_b32_e32 v11, s4, v11
	v_add3_u32 v7, v0, v8, v7
	v_mul_lo_u32 v0, v11, s22
	v_mul_hi_u32 v8, s6, v11
	v_sub_u32_e32 v0, v9, v0
	v_add_u32_e32 v8, v11, v8
	v_mul_lo_u32 v9, v0, s38
	v_lshrrev_b32_e32 v0, s7, v8
	s_add_i32 s69, s69, 4
	v_mul_lo_u32 v8, v0, s5
	s_add_u32 s56, s56, 16
	v_sub_u32_e32 v8, v11, v8
	s_addc_u32 s57, s57, 0
	v_mul_lo_u32 v8, v8, s39
	s_cmp_eq_u32 s65, s69
	v_add3_u32 v8, v9, v7, v8
	s_cbranch_scc0 .LBB7_40
; %bb.41:                               ;   in Loop: Header=BB7_9 Depth=1
	s_mov_b32 s6, s65
	s_andn2_b64 vcc, exec, s[52:53]
	s_cbranch_vccz .LBB7_45
	s_branch .LBB7_47
.LBB7_42:                               ;   in Loop: Header=BB7_9 Depth=1
                                        ; implicit-def: $vgpr8
	s_branch .LBB7_48
.LBB7_43:                               ;   in Loop: Header=BB7_9 Depth=1
	v_mov_b32_e32 v8, 0
	s_branch .LBB7_47
.LBB7_44:                               ;   in Loop: Header=BB7_9 Depth=1
	v_mov_b32_e32 v0, v10
	s_andn2_b64 vcc, exec, s[52:53]
	s_cbranch_vccnz .LBB7_47
.LBB7_45:                               ;   in Loop: Header=BB7_9 Depth=1
	s_lshl_b32 s4, s6, 2
	s_add_u32 s4, s44, s4
	s_addc_u32 s5, s45, 0
	s_mul_i32 s6, s6, 12
	s_add_u32 s6, s34, s6
	s_addc_u32 s7, s35, 0
	s_mov_b32 s16, s64
.LBB7_46:                               ;   Parent Loop BB7_9 Depth=1
                                        ; =>  This Inner Loop Header: Depth=2
	s_load_dwordx2 s[18:19], s[6:7], 0x4
	s_load_dword s17, s[6:7], 0xc
	s_load_dword s20, s[4:5], 0x0
	s_add_u32 s6, s6, 12
	s_addc_u32 s7, s7, 0
	s_waitcnt lgkmcnt(0)
	v_mul_hi_u32 v7, s19, v0
	v_add_u32_e32 v7, v0, v7
	v_lshrrev_b32_e32 v7, s17, v7
	s_add_u32 s4, s4, 4
	v_mul_lo_u32 v9, v7, s18
	s_addc_u32 s5, s5, 0
	s_add_i32 s16, s16, -1
	v_sub_u32_e32 v9, v0, v9
	s_cmp_lg_u32 s16, 0
	v_mov_b32_e32 v0, v7
	v_mad_u64_u32 v[8:9], s[18:19], v9, s20, v[8:9]
	s_cbranch_scc1 .LBB7_46
.LBB7_47:                               ;   in Loop: Header=BB7_9 Depth=1
	s_cbranch_execnz .LBB7_50
.LBB7_48:                               ;   in Loop: Header=BB7_9 Depth=1
	v_mul_hi_u32 v0, v10, s10
	v_add_u32_e32 v0, v0, v10
	v_lshrrev_b32_e32 v0, s11, v0
	v_mul_lo_u32 v7, v0, s9
	v_sub_u32_e32 v7, v10, v7
	s_andn2_b64 vcc, exec, s[48:49]
	v_mul_lo_u32 v8, v7, s46
	s_cbranch_vccnz .LBB7_50
; %bb.49:                               ;   in Loop: Header=BB7_9 Depth=1
	v_mul_hi_u32 v7, s8, v0
	v_add_u32_e32 v7, v0, v7
	v_lshrrev_b32_e32 v7, s14, v7
	v_mul_lo_u32 v7, v7, s12
	v_sub_u32_e32 v0, v0, v7
	v_mad_u64_u32 v[8:9], s[4:5], v0, s47, v[8:9]
.LBB7_50:                               ;   in Loop: Header=BB7_9 Depth=1
	v_cvt_f32_u32_e32 v0, v1
	v_mov_b32_e32 v1, 0x2f800000
	v_fmac_f32_e32 v1, 0x2f800000, v0
	v_cmp_gt_f32_e32 vcc, s66, v1
	v_cndmask_b32_e32 v0, 1.0, v40, vcc
	v_mul_f32_e32 v0, v1, v0
	v_log_f32_e32 v0, v0
	v_cndmask_b32_e32 v1, 0, v41, vcc
	v_mul_f32_e32 v7, 0x3f317217, v0
	v_fma_f32 v9, v0, s67, -v7
	v_fmac_f32_e32 v9, 0x3377d1cf, v0
	v_add_f32_e32 v7, v7, v9
	v_cmp_lt_f32_e64 vcc, |v0|, s68
	v_cndmask_b32_e32 v0, v0, v7, vcc
	v_sub_f32_e32 v0, v0, v1
	v_div_scale_f32 v1, s[4:5], v39, v39, v0
	v_rcp_f32_e32 v7, v1
	v_div_scale_f32 v9, vcc, v0, v39, v0
	v_fma_f32 v10, -v1, v7, 1.0
	v_fmac_f32_e32 v7, v10, v7
	v_mul_f32_e32 v10, v9, v7
	v_fma_f32 v11, -v1, v10, v9
	v_fmac_f32_e32 v10, v11, v7
	v_fma_f32 v1, -v1, v10, v9
	v_div_fmas_f32 v1, v1, v7, v10
	v_div_fixup_f32 v0, v1, v39, v0
	v_ceil_f32_e32 v0, v0
	v_cvt_i32_f32_e32 v0, v0
	global_store_byte v8, v0, s[28:29]
.LBB7_51:                               ;   in Loop: Header=BB7_9 Depth=1
	s_or_b64 exec, exec, s[2:3]
	v_mov_b32_e32 v0, s15
	v_add_co_u32_e32 v8, vcc, s13, v14
	v_addc_co_u32_e32 v9, vcc, v15, v0, vcc
	v_cmp_gt_i64_e32 vcc, s[24:25], v[8:9]
	s_and_saveexec_b64 s[2:3], vcc
	s_cbranch_execz .LBB7_67
; %bb.52:                               ;   in Loop: Header=BB7_9 Depth=1
	s_and_b64 vcc, exec, s[0:1]
	s_cbranch_vccnz .LBB7_58
; %bb.53:                               ;   in Loop: Header=BB7_9 Depth=1
	s_andn2_b64 vcc, exec, s[42:43]
	s_cbranch_vccnz .LBB7_59
; %bb.54:                               ;   in Loop: Header=BB7_9 Depth=1
	s_mov_b32 s6, 0
	s_andn2_b64 vcc, exec, s[30:31]
	v_mov_b32_e32 v0, 0
	s_cbranch_vccnz .LBB7_60
; %bb.55:                               ;   in Loop: Header=BB7_9 Depth=1
	s_mov_b32 s69, 0
	v_mov_b32_e32 v0, 0
	s_mov_b64 s[54:55], s[34:35]
	s_mov_b64 s[56:57], s[44:45]
	v_mov_b32_e32 v7, v8
.LBB7_56:                               ;   Parent Loop BB7_9 Depth=1
                                        ; =>  This Inner Loop Header: Depth=2
	s_load_dwordx8 s[16:23], s[54:55], 0x4
	s_load_dwordx4 s[4:7], s[54:55], 0x24
	s_load_dwordx4 s[36:39], s[56:57], 0x0
	s_add_u32 s54, s54, 48
	s_addc_u32 s55, s55, 0
	s_waitcnt lgkmcnt(0)
	v_mul_hi_u32 v1, s17, v7
	v_add_u32_e32 v1, v7, v1
	v_lshrrev_b32_e32 v1, s18, v1
	v_mul_lo_u32 v9, v1, s16
	v_mul_hi_u32 v10, s20, v1
	v_sub_u32_e32 v7, v7, v9
	v_add_u32_e32 v9, v1, v10
	v_lshrrev_b32_e32 v9, s21, v9
	v_mul_lo_u32 v10, v9, s19
	v_mul_hi_u32 v11, s23, v9
	v_sub_u32_e32 v1, v1, v10
	v_add_u32_e32 v10, v9, v11
	v_mul_lo_u32 v7, v7, s36
	v_mul_lo_u32 v1, v1, s37
	v_lshrrev_b32_e32 v10, s4, v10
	v_add3_u32 v0, v7, v0, v1
	v_mul_hi_u32 v7, s6, v10
	v_add_u32_e32 v7, v10, v7
	v_mul_lo_u32 v1, v10, s22
	v_lshrrev_b32_e32 v7, s7, v7
	s_add_i32 s69, s69, 4
	v_sub_u32_e32 v1, v9, v1
	v_mul_lo_u32 v9, v7, s5
	s_add_u32 s56, s56, 16
	v_sub_u32_e32 v9, v10, v9
	s_addc_u32 s57, s57, 0
	v_mul_lo_u32 v1, v1, s38
	v_mul_lo_u32 v9, v9, s39
	s_cmp_eq_u32 s65, s69
	v_add3_u32 v0, v1, v0, v9
	s_cbranch_scc0 .LBB7_56
; %bb.57:                               ;   in Loop: Header=BB7_9 Depth=1
	s_mov_b32 s6, s65
	s_andn2_b64 vcc, exec, s[52:53]
	s_cbranch_vccz .LBB7_61
	s_branch .LBB7_63
.LBB7_58:                               ;   in Loop: Header=BB7_9 Depth=1
                                        ; implicit-def: $vgpr0
	s_branch .LBB7_64
.LBB7_59:                               ;   in Loop: Header=BB7_9 Depth=1
	v_mov_b32_e32 v0, 0
	s_branch .LBB7_63
.LBB7_60:                               ;   in Loop: Header=BB7_9 Depth=1
	v_mov_b32_e32 v7, v8
	s_andn2_b64 vcc, exec, s[52:53]
	s_cbranch_vccnz .LBB7_63
.LBB7_61:                               ;   in Loop: Header=BB7_9 Depth=1
	s_lshl_b32 s4, s6, 2
	s_add_u32 s4, s44, s4
	s_addc_u32 s5, s45, 0
	s_mul_i32 s6, s6, 12
	s_add_u32 s6, s34, s6
	s_addc_u32 s7, s35, 0
	s_mov_b32 s16, s64
.LBB7_62:                               ;   Parent Loop BB7_9 Depth=1
                                        ; =>  This Inner Loop Header: Depth=2
	s_load_dwordx2 s[18:19], s[6:7], 0x4
	s_load_dword s17, s[6:7], 0xc
	s_load_dword s20, s[4:5], 0x0
	s_add_u32 s6, s6, 12
	s_addc_u32 s7, s7, 0
	s_waitcnt lgkmcnt(0)
	v_mul_hi_u32 v1, s19, v7
	v_add_u32_e32 v1, v7, v1
	v_lshrrev_b32_e32 v1, s17, v1
	s_add_u32 s4, s4, 4
	v_mul_lo_u32 v9, v1, s18
	s_addc_u32 s5, s5, 0
	s_add_i32 s16, s16, -1
	v_sub_u32_e32 v9, v7, v9
	s_cmp_lg_u32 s16, 0
	v_mov_b32_e32 v7, v1
	v_mad_u64_u32 v[0:1], s[18:19], v9, s20, v[0:1]
	s_cbranch_scc1 .LBB7_62
.LBB7_63:                               ;   in Loop: Header=BB7_9 Depth=1
	s_cbranch_execnz .LBB7_66
.LBB7_64:                               ;   in Loop: Header=BB7_9 Depth=1
	v_mul_hi_u32 v0, v8, s10
	v_add_u32_e32 v0, v0, v8
	v_lshrrev_b32_e32 v1, s11, v0
	v_mul_lo_u32 v0, v1, s9
	v_sub_u32_e32 v0, v8, v0
	s_andn2_b64 vcc, exec, s[48:49]
	v_mul_lo_u32 v0, v0, s46
	s_cbranch_vccnz .LBB7_66
; %bb.65:                               ;   in Loop: Header=BB7_9 Depth=1
	v_mul_hi_u32 v7, s8, v1
	v_add_u32_e32 v7, v1, v7
	v_lshrrev_b32_e32 v7, s14, v7
	v_mul_lo_u32 v7, v7, s12
	v_sub_u32_e32 v1, v1, v7
	v_mad_u64_u32 v[0:1], s[4:5], v1, s47, v[0:1]
.LBB7_66:                               ;   in Loop: Header=BB7_9 Depth=1
	v_cvt_f32_u32_e32 v1, v2
	v_mov_b32_e32 v2, 0x2f800000
	v_fmac_f32_e32 v2, 0x2f800000, v1
	v_cmp_gt_f32_e32 vcc, s66, v2
	v_cndmask_b32_e32 v1, 1.0, v40, vcc
	v_mul_f32_e32 v1, v2, v1
	v_log_f32_e32 v1, v1
	v_cndmask_b32_e32 v2, 0, v41, vcc
	v_mul_f32_e32 v7, 0x3f317217, v1
	v_fma_f32 v8, v1, s67, -v7
	v_fmac_f32_e32 v8, 0x3377d1cf, v1
	v_add_f32_e32 v7, v7, v8
	v_cmp_lt_f32_e64 vcc, |v1|, s68
	v_cndmask_b32_e32 v1, v1, v7, vcc
	v_sub_f32_e32 v1, v1, v2
	v_div_scale_f32 v2, s[4:5], v39, v39, v1
	v_rcp_f32_e32 v7, v2
	v_div_scale_f32 v8, vcc, v1, v39, v1
	v_fma_f32 v9, -v2, v7, 1.0
	v_fmac_f32_e32 v7, v9, v7
	v_mul_f32_e32 v9, v8, v7
	v_fma_f32 v10, -v2, v9, v8
	v_fmac_f32_e32 v9, v10, v7
	v_fma_f32 v2, -v2, v9, v8
	v_div_fmas_f32 v2, v2, v7, v9
	v_div_fixup_f32 v1, v2, v39, v1
	v_ceil_f32_e32 v1, v1
	v_cvt_i32_f32_e32 v1, v1
	global_store_byte v0, v1, s[28:29]
.LBB7_67:                               ;   in Loop: Header=BB7_9 Depth=1
	s_or_b64 exec, exec, s[2:3]
	v_mov_b32_e32 v0, s63
	v_add_co_u32_e32 v8, vcc, s62, v14
	v_addc_co_u32_e32 v9, vcc, v15, v0, vcc
	v_cmp_gt_i64_e32 vcc, s[24:25], v[8:9]
	s_and_saveexec_b64 s[36:37], vcc
	s_cbranch_execz .LBB7_8
; %bb.68:                               ;   in Loop: Header=BB7_9 Depth=1
	s_and_b64 vcc, exec, s[0:1]
	s_cbranch_vccnz .LBB7_74
; %bb.69:                               ;   in Loop: Header=BB7_9 Depth=1
	s_andn2_b64 vcc, exec, s[42:43]
	s_cbranch_vccnz .LBB7_75
; %bb.70:                               ;   in Loop: Header=BB7_9 Depth=1
	s_mov_b32 s2, 0
	s_andn2_b64 vcc, exec, s[30:31]
	v_mov_b32_e32 v0, 0
	s_cbranch_vccnz .LBB7_76
; %bb.71:                               ;   in Loop: Header=BB7_9 Depth=1
	s_mov_b32 s56, 0
	v_mov_b32_e32 v0, 0
	s_mov_b64 s[38:39], s[34:35]
	s_mov_b64 s[54:55], s[44:45]
	v_mov_b32_e32 v2, v8
.LBB7_72:                               ;   Parent Loop BB7_9 Depth=1
                                        ; =>  This Inner Loop Header: Depth=2
	s_load_dwordx8 s[0:7], s[38:39], 0x4
	s_load_dwordx4 s[16:19], s[38:39], 0x24
	s_load_dwordx4 s[20:23], s[54:55], 0x0
	s_add_u32 s38, s38, 48
	s_addc_u32 s39, s39, 0
	s_waitcnt lgkmcnt(0)
	v_mul_hi_u32 v1, s1, v2
	v_add_u32_e32 v1, v2, v1
	v_lshrrev_b32_e32 v1, s2, v1
	v_mul_lo_u32 v7, v1, s0
	v_mul_hi_u32 v9, s4, v1
	v_sub_u32_e32 v2, v2, v7
	v_add_u32_e32 v7, v1, v9
	v_lshrrev_b32_e32 v7, s5, v7
	v_mul_lo_u32 v9, v7, s3
	v_mul_hi_u32 v10, s7, v7
	v_sub_u32_e32 v1, v1, v9
	v_add_u32_e32 v9, v7, v10
	v_mul_lo_u32 v2, v2, s20
	v_mul_lo_u32 v1, v1, s21
	v_lshrrev_b32_e32 v9, s16, v9
	v_add3_u32 v0, v2, v0, v1
	v_mul_hi_u32 v2, s18, v9
	v_add_u32_e32 v2, v9, v2
	v_mul_lo_u32 v1, v9, s6
	v_lshrrev_b32_e32 v2, s19, v2
	s_add_i32 s56, s56, 4
	v_sub_u32_e32 v1, v7, v1
	v_mul_lo_u32 v7, v2, s17
	s_add_u32 s54, s54, 16
	v_sub_u32_e32 v7, v9, v7
	s_addc_u32 s55, s55, 0
	v_mul_lo_u32 v1, v1, s22
	v_mul_lo_u32 v7, v7, s23
	s_cmp_eq_u32 s65, s56
	v_add3_u32 v0, v1, v0, v7
	s_cbranch_scc0 .LBB7_72
; %bb.73:                               ;   in Loop: Header=BB7_9 Depth=1
	s_mov_b32 s2, s65
	s_andn2_b64 vcc, exec, s[52:53]
	s_cbranch_vccz .LBB7_77
	s_branch .LBB7_79
.LBB7_74:                               ;   in Loop: Header=BB7_9 Depth=1
                                        ; implicit-def: $vgpr0
	s_branch .LBB7_80
.LBB7_75:                               ;   in Loop: Header=BB7_9 Depth=1
	v_mov_b32_e32 v0, 0
	s_branch .LBB7_79
.LBB7_76:                               ;   in Loop: Header=BB7_9 Depth=1
	v_mov_b32_e32 v2, v8
	s_andn2_b64 vcc, exec, s[52:53]
	s_cbranch_vccnz .LBB7_79
.LBB7_77:                               ;   in Loop: Header=BB7_9 Depth=1
	s_lshl_b32 s0, s2, 2
	s_add_u32 s0, s44, s0
	s_addc_u32 s1, s45, 0
	s_mul_i32 s2, s2, 12
	s_add_u32 s2, s34, s2
	s_addc_u32 s3, s35, 0
	s_mov_b32 s4, s64
.LBB7_78:                               ;   Parent Loop BB7_9 Depth=1
                                        ; =>  This Inner Loop Header: Depth=2
	s_load_dwordx2 s[6:7], s[2:3], 0x4
	s_load_dword s5, s[2:3], 0xc
	s_load_dword s16, s[0:1], 0x0
	s_add_u32 s2, s2, 12
	s_addc_u32 s3, s3, 0
	s_waitcnt lgkmcnt(0)
	v_mul_hi_u32 v1, s7, v2
	v_add_u32_e32 v1, v2, v1
	v_lshrrev_b32_e32 v1, s5, v1
	s_add_u32 s0, s0, 4
	v_mul_lo_u32 v7, v1, s6
	s_addc_u32 s1, s1, 0
	s_add_i32 s4, s4, -1
	v_sub_u32_e32 v7, v2, v7
	s_cmp_lg_u32 s4, 0
	v_mov_b32_e32 v2, v1
	v_mad_u64_u32 v[0:1], s[6:7], v7, s16, v[0:1]
	s_cbranch_scc1 .LBB7_78
.LBB7_79:                               ;   in Loop: Header=BB7_9 Depth=1
	s_cbranch_execnz .LBB7_7
.LBB7_80:                               ;   in Loop: Header=BB7_9 Depth=1
	v_mul_hi_u32 v0, v8, s10
	v_add_u32_e32 v0, v0, v8
	v_lshrrev_b32_e32 v1, s11, v0
	v_mul_lo_u32 v0, v1, s9
	v_sub_u32_e32 v0, v8, v0
	s_andn2_b64 vcc, exec, s[48:49]
	v_mul_lo_u32 v0, v0, s46
	s_cbranch_vccnz .LBB7_7
; %bb.81:                               ;   in Loop: Header=BB7_9 Depth=1
	v_mul_hi_u32 v2, s8, v1
	v_add_u32_e32 v2, v1, v2
	v_lshrrev_b32_e32 v2, s14, v2
	v_mul_lo_u32 v2, v2, s12
	v_sub_u32_e32 v1, v1, v2
	v_mad_u64_u32 v[0:1], s[0:1], v1, s47, v[0:1]
	s_branch .LBB7_7
.LBB7_82:
	s_endpgm
.LBB7_83:
                                        ; implicit-def: $sgpr2_sgpr3
	s_andn2_b64 vcc, exec, s[0:1]
	s_cbranch_vccz .LBB7_4
	s_branch .LBB7_5
	.section	.rodata,"a",@progbits
	.p2align	6, 0x0
	.amdhsa_kernel _ZN2at6native12_GLOBAL__N_143distribution_elementwise_grid_stride_kernelIfLi4EZNS0_9templates4cuda21uniform_and_transformIafPNS_17CUDAGeneratorImplEZZZNS4_16geometric_kernelIS7_EEvRNS_18TensorIteratorBaseEdT_ENKUlvE_clEvENKUlvE0_clEvEUlfE_EEvSA_T1_T2_EUlP25hiprandStatePhilox4_32_10E0_ZNS1_27distribution_nullary_kernelIaf15HIP_vector_typeIfLj4EES7_SJ_SE_EEvSA_SG_RKT3_T4_EUlifE0_EEvlNS_15PhiloxCudaStateESF_SG_
		.amdhsa_group_segment_fixed_size 0
		.amdhsa_private_segment_fixed_size 0
		.amdhsa_kernarg_size 584
		.amdhsa_user_sgpr_count 6
		.amdhsa_user_sgpr_private_segment_buffer 1
		.amdhsa_user_sgpr_dispatch_ptr 0
		.amdhsa_user_sgpr_queue_ptr 0
		.amdhsa_user_sgpr_kernarg_segment_ptr 1
		.amdhsa_user_sgpr_dispatch_id 0
		.amdhsa_user_sgpr_flat_scratch_init 0
		.amdhsa_user_sgpr_kernarg_preload_length 0
		.amdhsa_user_sgpr_kernarg_preload_offset 0
		.amdhsa_user_sgpr_private_segment_size 0
		.amdhsa_uses_dynamic_stack 0
		.amdhsa_system_sgpr_private_segment_wavefront_offset 0
		.amdhsa_system_sgpr_workgroup_id_x 1
		.amdhsa_system_sgpr_workgroup_id_y 0
		.amdhsa_system_sgpr_workgroup_id_z 0
		.amdhsa_system_sgpr_workgroup_info 0
		.amdhsa_system_vgpr_workitem_id 0
		.amdhsa_next_free_vgpr 44
		.amdhsa_next_free_sgpr 70
		.amdhsa_accum_offset 44
		.amdhsa_reserve_vcc 1
		.amdhsa_reserve_flat_scratch 0
		.amdhsa_float_round_mode_32 0
		.amdhsa_float_round_mode_16_64 0
		.amdhsa_float_denorm_mode_32 3
		.amdhsa_float_denorm_mode_16_64 3
		.amdhsa_dx10_clamp 1
		.amdhsa_ieee_mode 1
		.amdhsa_fp16_overflow 0
		.amdhsa_tg_split 0
		.amdhsa_exception_fp_ieee_invalid_op 0
		.amdhsa_exception_fp_denorm_src 0
		.amdhsa_exception_fp_ieee_div_zero 0
		.amdhsa_exception_fp_ieee_overflow 0
		.amdhsa_exception_fp_ieee_underflow 0
		.amdhsa_exception_fp_ieee_inexact 0
		.amdhsa_exception_int_div_zero 0
	.end_amdhsa_kernel
	.section	.text._ZN2at6native12_GLOBAL__N_143distribution_elementwise_grid_stride_kernelIfLi4EZNS0_9templates4cuda21uniform_and_transformIafPNS_17CUDAGeneratorImplEZZZNS4_16geometric_kernelIS7_EEvRNS_18TensorIteratorBaseEdT_ENKUlvE_clEvENKUlvE0_clEvEUlfE_EEvSA_T1_T2_EUlP25hiprandStatePhilox4_32_10E0_ZNS1_27distribution_nullary_kernelIaf15HIP_vector_typeIfLj4EES7_SJ_SE_EEvSA_SG_RKT3_T4_EUlifE0_EEvlNS_15PhiloxCudaStateESF_SG_,"axG",@progbits,_ZN2at6native12_GLOBAL__N_143distribution_elementwise_grid_stride_kernelIfLi4EZNS0_9templates4cuda21uniform_and_transformIafPNS_17CUDAGeneratorImplEZZZNS4_16geometric_kernelIS7_EEvRNS_18TensorIteratorBaseEdT_ENKUlvE_clEvENKUlvE0_clEvEUlfE_EEvSA_T1_T2_EUlP25hiprandStatePhilox4_32_10E0_ZNS1_27distribution_nullary_kernelIaf15HIP_vector_typeIfLj4EES7_SJ_SE_EEvSA_SG_RKT3_T4_EUlifE0_EEvlNS_15PhiloxCudaStateESF_SG_,comdat
.Lfunc_end7:
	.size	_ZN2at6native12_GLOBAL__N_143distribution_elementwise_grid_stride_kernelIfLi4EZNS0_9templates4cuda21uniform_and_transformIafPNS_17CUDAGeneratorImplEZZZNS4_16geometric_kernelIS7_EEvRNS_18TensorIteratorBaseEdT_ENKUlvE_clEvENKUlvE0_clEvEUlfE_EEvSA_T1_T2_EUlP25hiprandStatePhilox4_32_10E0_ZNS1_27distribution_nullary_kernelIaf15HIP_vector_typeIfLj4EES7_SJ_SE_EEvSA_SG_RKT3_T4_EUlifE0_EEvlNS_15PhiloxCudaStateESF_SG_, .Lfunc_end7-_ZN2at6native12_GLOBAL__N_143distribution_elementwise_grid_stride_kernelIfLi4EZNS0_9templates4cuda21uniform_and_transformIafPNS_17CUDAGeneratorImplEZZZNS4_16geometric_kernelIS7_EEvRNS_18TensorIteratorBaseEdT_ENKUlvE_clEvENKUlvE0_clEvEUlfE_EEvSA_T1_T2_EUlP25hiprandStatePhilox4_32_10E0_ZNS1_27distribution_nullary_kernelIaf15HIP_vector_typeIfLj4EES7_SJ_SE_EEvSA_SG_RKT3_T4_EUlifE0_EEvlNS_15PhiloxCudaStateESF_SG_
                                        ; -- End function
	.section	.AMDGPU.csdata,"",@progbits
; Kernel info:
; codeLenInByte = 5568
; NumSgprs: 74
; NumVgprs: 44
; NumAgprs: 0
; TotalNumVgprs: 44
; ScratchSize: 0
; MemoryBound: 0
; FloatMode: 240
; IeeeMode: 1
; LDSByteSize: 0 bytes/workgroup (compile time only)
; SGPRBlocks: 9
; VGPRBlocks: 5
; NumSGPRsForWavesPerEU: 74
; NumVGPRsForWavesPerEU: 44
; AccumOffset: 44
; Occupancy: 8
; WaveLimiterHint : 1
; COMPUTE_PGM_RSRC2:SCRATCH_EN: 0
; COMPUTE_PGM_RSRC2:USER_SGPR: 6
; COMPUTE_PGM_RSRC2:TRAP_HANDLER: 0
; COMPUTE_PGM_RSRC2:TGID_X_EN: 1
; COMPUTE_PGM_RSRC2:TGID_Y_EN: 0
; COMPUTE_PGM_RSRC2:TGID_Z_EN: 0
; COMPUTE_PGM_RSRC2:TIDIG_COMP_CNT: 0
; COMPUTE_PGM_RSRC3_GFX90A:ACCUM_OFFSET: 10
; COMPUTE_PGM_RSRC3_GFX90A:TG_SPLIT: 0
	.section	.text._ZN2at6native12_GLOBAL__N_143distribution_elementwise_grid_stride_kernelIfLi4EZNS0_9templates4cuda21uniform_and_transformIifPNS_17CUDAGeneratorImplEZZZNS4_16geometric_kernelIS7_EEvRNS_18TensorIteratorBaseEdT_ENKUlvE_clEvENKUlvE1_clEvEUlfE_EEvSA_T1_T2_EUlP25hiprandStatePhilox4_32_10E_ZNS1_27distribution_nullary_kernelIif15HIP_vector_typeIdLj2EES7_SJ_SE_EEvSA_SG_RKT3_T4_EUlifE_EEvlNS_15PhiloxCudaStateESF_SG_,"axG",@progbits,_ZN2at6native12_GLOBAL__N_143distribution_elementwise_grid_stride_kernelIfLi4EZNS0_9templates4cuda21uniform_and_transformIifPNS_17CUDAGeneratorImplEZZZNS4_16geometric_kernelIS7_EEvRNS_18TensorIteratorBaseEdT_ENKUlvE_clEvENKUlvE1_clEvEUlfE_EEvSA_T1_T2_EUlP25hiprandStatePhilox4_32_10E_ZNS1_27distribution_nullary_kernelIif15HIP_vector_typeIdLj2EES7_SJ_SE_EEvSA_SG_RKT3_T4_EUlifE_EEvlNS_15PhiloxCudaStateESF_SG_,comdat
	.globl	_ZN2at6native12_GLOBAL__N_143distribution_elementwise_grid_stride_kernelIfLi4EZNS0_9templates4cuda21uniform_and_transformIifPNS_17CUDAGeneratorImplEZZZNS4_16geometric_kernelIS7_EEvRNS_18TensorIteratorBaseEdT_ENKUlvE_clEvENKUlvE1_clEvEUlfE_EEvSA_T1_T2_EUlP25hiprandStatePhilox4_32_10E_ZNS1_27distribution_nullary_kernelIif15HIP_vector_typeIdLj2EES7_SJ_SE_EEvSA_SG_RKT3_T4_EUlifE_EEvlNS_15PhiloxCudaStateESF_SG_ ; -- Begin function _ZN2at6native12_GLOBAL__N_143distribution_elementwise_grid_stride_kernelIfLi4EZNS0_9templates4cuda21uniform_and_transformIifPNS_17CUDAGeneratorImplEZZZNS4_16geometric_kernelIS7_EEvRNS_18TensorIteratorBaseEdT_ENKUlvE_clEvENKUlvE1_clEvEUlfE_EEvSA_T1_T2_EUlP25hiprandStatePhilox4_32_10E_ZNS1_27distribution_nullary_kernelIif15HIP_vector_typeIdLj2EES7_SJ_SE_EEvSA_SG_RKT3_T4_EUlifE_EEvlNS_15PhiloxCudaStateESF_SG_
	.p2align	8
	.type	_ZN2at6native12_GLOBAL__N_143distribution_elementwise_grid_stride_kernelIfLi4EZNS0_9templates4cuda21uniform_and_transformIifPNS_17CUDAGeneratorImplEZZZNS4_16geometric_kernelIS7_EEvRNS_18TensorIteratorBaseEdT_ENKUlvE_clEvENKUlvE1_clEvEUlfE_EEvSA_T1_T2_EUlP25hiprandStatePhilox4_32_10E_ZNS1_27distribution_nullary_kernelIif15HIP_vector_typeIdLj2EES7_SJ_SE_EEvSA_SG_RKT3_T4_EUlifE_EEvlNS_15PhiloxCudaStateESF_SG_,@function
_ZN2at6native12_GLOBAL__N_143distribution_elementwise_grid_stride_kernelIfLi4EZNS0_9templates4cuda21uniform_and_transformIifPNS_17CUDAGeneratorImplEZZZNS4_16geometric_kernelIS7_EEvRNS_18TensorIteratorBaseEdT_ENKUlvE_clEvENKUlvE1_clEvEUlfE_EEvSA_T1_T2_EUlP25hiprandStatePhilox4_32_10E_ZNS1_27distribution_nullary_kernelIif15HIP_vector_typeIdLj2EES7_SJ_SE_EEvSA_SG_RKT3_T4_EUlifE_EEvlNS_15PhiloxCudaStateESF_SG_: ; @_ZN2at6native12_GLOBAL__N_143distribution_elementwise_grid_stride_kernelIfLi4EZNS0_9templates4cuda21uniform_and_transformIifPNS_17CUDAGeneratorImplEZZZNS4_16geometric_kernelIS7_EEvRNS_18TensorIteratorBaseEdT_ENKUlvE_clEvENKUlvE1_clEvEUlfE_EEvSA_T1_T2_EUlP25hiprandStatePhilox4_32_10E_ZNS1_27distribution_nullary_kernelIif15HIP_vector_typeIdLj2EES7_SJ_SE_EEvSA_SG_RKT3_T4_EUlifE_EEvlNS_15PhiloxCudaStateESF_SG_
; %bb.0:
	s_load_dword s2, s[4:5], 0x20
	s_load_dwordx2 s[0:1], s[4:5], 0x10
	s_load_dwordx4 s[8:11], s[4:5], 0x0
	s_waitcnt lgkmcnt(0)
	s_bitcmp0_b32 s2, 0
	s_mov_b32 s2, 0
	v_pk_mov_b32 v[2:3], s[0:1], s[0:1] op_sel:[0,1]
	v_pk_mov_b32 v[14:15], s[10:11], s[10:11] op_sel:[0,1]
	s_cbranch_scc1 .LBB8_2
; %bb.1:
	v_pk_mov_b32 v[2:3], s[0:1], s[0:1] op_sel:[0,1]
	flat_load_dwordx2 v[2:3], v[2:3]
	v_pk_mov_b32 v[4:5], s[10:11], s[10:11] op_sel:[0,1]
	flat_load_dwordx2 v[14:15], v[4:5]
	s_load_dwordx2 s[0:1], s[4:5], 0x18
	s_waitcnt lgkmcnt(0)
	v_mov_b32_e32 v1, s1
	s_waitcnt vmcnt(0)
	v_add_co_u32_e32 v2, vcc, s0, v2
	v_addc_co_u32_e32 v3, vcc, v3, v1, vcc
.LBB8_2:
	s_load_dword s0, s[4:5], 0x54
	s_load_dword s17, s[4:5], 0x48
	s_waitcnt lgkmcnt(0)
	s_and_b32 s7, s0, 0xffff
	s_add_u32 s10, s8, -1
	s_mul_i32 s12, s17, s7
	s_addc_u32 s3, s9, -1
	s_lshl_b32 s13, s12, 2
	s_cmp_lg_u64 s[2:3], 0
	s_mov_b64 s[0:1], -1
	s_cbranch_scc0 .LBB8_27
; %bb.3:
	v_cvt_f32_u32_e32 v1, s13
	v_cvt_f32_ubyte0_e32 v4, 0
	s_sub_u32 s2, 0, s13
	s_subb_u32 s11, 0, 0
	v_madmk_f32 v1, v4, 0x4f800000, v1
	v_rcp_f32_e32 v1, v1
	v_mul_f32_e32 v1, 0x5f7ffffc, v1
	v_mul_f32_e32 v4, 0x2f800000, v1
	v_trunc_f32_e32 v4, v4
	v_madmk_f32 v1, v4, 0xcf800000, v1
	v_cvt_u32_f32_e32 v4, v4
	v_cvt_u32_f32_e32 v1, v1
	v_readfirstlane_b32 s14, v4
	v_readfirstlane_b32 s15, v1
	s_mul_i32 s16, s2, s14
	s_mul_hi_u32 s19, s2, s15
	s_mul_i32 s18, s11, s15
	s_add_i32 s16, s19, s16
	s_add_i32 s16, s16, s18
	s_mul_i32 s20, s2, s15
	s_mul_hi_u32 s18, s15, s16
	s_mul_i32 s19, s15, s16
	s_mul_hi_u32 s15, s15, s20
	s_add_u32 s15, s15, s19
	s_addc_u32 s18, 0, s18
	s_mul_hi_u32 s21, s14, s20
	s_mul_i32 s20, s14, s20
	s_add_u32 s15, s15, s20
	s_mul_hi_u32 s19, s14, s16
	s_addc_u32 s15, s18, s21
	s_addc_u32 s18, s19, 0
	s_mul_i32 s16, s14, s16
	s_add_u32 s15, s15, s16
	s_addc_u32 s16, 0, s18
	v_add_co_u32_e32 v1, vcc, s15, v1
	s_cmp_lg_u64 vcc, 0
	s_addc_u32 s14, s14, s16
	v_readfirstlane_b32 s16, v1
	s_mul_i32 s15, s2, s14
	s_mul_hi_u32 s18, s2, s16
	s_add_i32 s15, s18, s15
	s_mul_i32 s11, s11, s16
	s_add_i32 s15, s15, s11
	s_mul_i32 s2, s2, s16
	s_mul_hi_u32 s18, s14, s2
	s_mul_i32 s19, s14, s2
	s_mul_i32 s21, s16, s15
	s_mul_hi_u32 s2, s16, s2
	s_mul_hi_u32 s20, s16, s15
	s_add_u32 s2, s2, s21
	s_addc_u32 s16, 0, s20
	s_add_u32 s2, s2, s19
	s_mul_hi_u32 s11, s14, s15
	s_addc_u32 s2, s16, s18
	s_addc_u32 s11, s11, 0
	s_mul_i32 s15, s14, s15
	s_add_u32 s2, s2, s15
	s_addc_u32 s11, 0, s11
	v_add_co_u32_e32 v1, vcc, s2, v1
	s_cmp_lg_u64 vcc, 0
	s_addc_u32 s11, s14, s11
	s_ashr_i32 s14, s3, 31
	s_add_u32 s2, s10, s14
	s_mov_b32 s15, s14
	s_addc_u32 s3, s3, s14
	s_xor_b64 s[2:3], s[2:3], s[14:15]
	v_readfirstlane_b32 s19, v1
	s_mul_i32 s18, s2, s11
	s_mul_hi_u32 s20, s2, s19
	s_mul_hi_u32 s16, s2, s11
	s_add_u32 s18, s20, s18
	s_addc_u32 s16, 0, s16
	s_mul_hi_u32 s21, s3, s19
	s_mul_i32 s19, s3, s19
	s_add_u32 s18, s18, s19
	s_mul_hi_u32 s20, s3, s11
	s_addc_u32 s16, s16, s21
	s_addc_u32 s18, s20, 0
	s_mul_i32 s11, s3, s11
	s_add_u32 s11, s16, s11
	s_addc_u32 s16, 0, s18
	s_add_u32 s18, s11, 1
	s_addc_u32 s19, s16, 0
	s_add_u32 s20, s11, 2
	s_mul_i32 s22, s13, s16
	s_mul_hi_u32 s23, s13, s11
	s_addc_u32 s21, s16, 0
	s_add_i32 s23, s23, s22
	s_mul_i32 s22, s13, s11
	v_mov_b32_e32 v1, s22
	v_sub_co_u32_e32 v1, vcc, s2, v1
	s_cmp_lg_u64 vcc, 0
	s_subb_u32 s2, s3, s23
	v_subrev_co_u32_e32 v4, vcc, s13, v1
	s_cmp_lg_u64 vcc, 0
	s_subb_u32 s3, s2, 0
	v_readfirstlane_b32 s22, v4
	s_cmp_ge_u32 s22, s13
	s_cselect_b32 s22, -1, 0
	s_cmp_eq_u32 s3, 0
	s_cselect_b32 s3, s22, -1
	s_cmp_lg_u32 s3, 0
	s_cselect_b32 s3, s21, s19
	v_readfirstlane_b32 s19, v1
	s_cselect_b32 s18, s20, s18
	s_cmp_ge_u32 s19, s13
	s_cselect_b32 s19, -1, 0
	s_cmp_eq_u32 s2, 0
	s_cselect_b32 s2, s19, -1
	s_cmp_lg_u32 s2, 0
	s_cselect_b32 s3, s3, s16
	s_cselect_b32 s2, s18, s11
	s_xor_b64 s[2:3], s[2:3], s[14:15]
	s_sub_u32 s2, s2, s14
	s_subb_u32 s3, s3, s14
	s_cbranch_execnz .LBB8_5
.LBB8_4:
	v_cvt_f32_u32_e32 v1, s13
	s_sub_i32 s0, 0, s13
	s_mov_b32 s3, 0
	v_rcp_iflag_f32_e32 v1, v1
	v_mul_f32_e32 v1, 0x4f7ffffe, v1
	v_cvt_u32_f32_e32 v1, v1
	v_readfirstlane_b32 s1, v1
	s_mul_i32 s0, s0, s1
	s_mul_hi_u32 s0, s1, s0
	s_add_i32 s1, s1, s0
	s_mul_hi_u32 s0, s10, s1
	s_mul_i32 s2, s0, s13
	s_sub_i32 s2, s10, s2
	s_add_i32 s1, s0, 1
	s_sub_i32 s10, s2, s13
	s_cmp_ge_u32 s2, s13
	s_cselect_b32 s0, s1, s0
	s_cselect_b32 s2, s10, s2
	s_add_i32 s1, s0, 1
	s_cmp_ge_u32 s2, s13
	s_cselect_b32 s2, s1, s0
.LBB8_5:
	v_mov_b32_e32 v1, 0
	v_mov_b32_e32 v4, s6
	v_mad_u64_u32 v[16:17], s[0:1], s7, v4, v[0:1]
	s_add_u32 s0, s2, 1
	s_addc_u32 s1, s3, 0
	s_mul_hi_u32 s2, s17, s7
	s_mul_i32 s1, s12, s1
	s_mul_hi_u32 s3, s12, s0
	s_add_i32 s1, s3, s1
	s_mul_i32 s2, s2, s0
	s_add_i32 s1, s1, s2
	s_mul_i32 s0, s12, s0
	s_lshl_b64 s[2:3], s[0:1], 2
	v_cmp_gt_i64_e32 vcc, s[2:3], v[16:17]
	s_and_saveexec_b64 s[0:1], vcc
	s_cbranch_execz .LBB8_26
; %bb.6:
	s_load_dwordx2 s[10:11], s[4:5], 0x30
	s_load_dword s25, s[4:5], 0x38
	s_load_dwordx2 s[0:1], s[4:5], 0x40
	s_mov_b32 s4, 0x5384540f
	v_mov_b32_e32 v4, v15
	v_add_co_u32_e32 v22, vcc, s4, v14
	s_mov_b32 s4, 0x646e171e
	v_add_co_u32_e32 v23, vcc, s4, v4
	s_mov_b32 s4, 0x1715609d
	;; [unrolled: 2-line block ×6, first 2 shown]
	v_alignbit_b32 v29, v3, v2, 2
	s_mov_b32 s15, 0xd2511f53
	v_add_co_u32_e32 v28, vcc, s4, v14
	v_mad_u64_u32 v[6:7], s[4:5], v29, s15, 0
	v_xor_b32_e32 v1, v7, v15
	v_xor_b32_e32 v1, v1, v17
	s_mov_b32 s16, 0xcd9e8d57
	v_mad_u64_u32 v[8:9], s[4:5], v1, s16, 0
	v_xor_b32_e32 v1, v28, v9
	v_mad_u64_u32 v[10:11], s[4:5], v16, s16, 0
	v_and_b32_e32 v18, 3, v2
	v_xor_b32_e32 v1, v1, v10
	v_xor_b32_e32 v2, v14, v11
	v_lshrrev_b32_e32 v30, 2, v3
	v_mad_u64_u32 v[12:13], s[4:5], v1, s15, 0
	v_xor_b32_e32 v2, v2, v30
	v_xor_b32_e32 v1, v27, v13
	v_mad_u64_u32 v[2:3], s[4:5], v2, s15, 0
	v_xor_b32_e32 v1, v1, v2
	v_mad_u64_u32 v[10:11], s[4:5], v1, s16, 0
	s_mov_b32 s4, 0xbb67ae85
	v_add_co_u32_e32 v31, vcc, s4, v4
	v_xor_b32_e32 v2, v31, v3
	v_xor_b32_e32 v2, v2, v6
	v_xor_b32_e32 v1, v26, v11
	v_mad_u64_u32 v[2:3], s[4:5], v2, s16, 0
	v_xor_b32_e32 v1, v1, v2
	v_mad_u64_u32 v[6:7], s[4:5], v1, s15, 0
	s_mov_b32 s4, 0x3c6ef372
	v_add_co_u32_e32 v32, vcc, s4, v14
	v_xor_b32_e32 v2, v32, v3
	;; [unrolled: 8-line block ×6, first 2 shown]
	v_add_co_u32_e32 v21, vcc, 0xdb3d7428, v4
	v_xor_b32_e32 v2, v2, v8
	v_xor_b32_e32 v1, v21, v41
	v_mad_u64_u32 v[2:3], s[4:5], v2, s15, 0
	v_xor_b32_e32 v1, v1, v2
	v_mad_u64_u32 v[8:9], s[4:5], v1, s16, 0
	s_mov_b32 s4, 0x1fd5c5a3
	v_add_co_u32_e32 v37, vcc, s4, v4
	v_xor_b32_e32 v1, v37, v3
	v_xor_b32_e32 v1, v1, v12
	v_mad_u64_u32 v[2:3], s[4:5], v1, s16, 0
	s_mov_b32 s4, 0xf1bbcdc8
	v_add_u32_e32 v19, 0x8ff34781, v14
	v_xor_b32_e32 v1, v9, v2
	v_add_co_u32_e32 v38, vcc, s4, v14
	v_xor_b32_e32 v2, v19, v1
	v_xor_b32_e32 v1, v38, v3
	v_xor_b32_e32 v1, v1, v10
	v_mad_u64_u32 v[6:7], s[4:5], v1, s15, 0
	v_add_u32_e32 v20, 0x96a522ad, v15
	v_xor_b32_e32 v1, v7, v40
	v_xor_b32_e32 v4, v20, v1
	s_waitcnt lgkmcnt(0)
	v_cvt_f32_f64_e32 v1, s[0:1]
	v_sub_f32_e32 v5, 1.0, v1
	v_add_f32_e32 v7, -1.0, v5
	v_mov_b32_e32 v3, v8
	v_sub_f32_e32 v8, v7, v5
	v_add_f32_e32 v8, 1.0, v8
	v_sub_f32_e64 v7, -v1, v7
	v_add_f32_e32 v7, v7, v8
	v_frexp_mant_f32_e32 v10, v5
	s_mov_b32 s0, 0x3f2aaaab
	v_cvt_f64_f32_e32 v[8:9], v5
	v_frexp_exp_i32_f64_e32 v8, v[8:9]
	v_cmp_gt_f32_e32 vcc, s0, v10
	v_subbrev_co_u32_e32 v8, vcc, 0, v8, vcc
	v_sub_u32_e32 v9, 0, v8
	v_ldexp_f32 v5, v5, v9
	v_ldexp_f32 v7, v7, v9
	v_add_f32_e32 v9, -1.0, v5
	v_add_f32_e32 v12, 1.0, v5
	v_add_f32_e32 v10, 1.0, v9
	v_add_f32_e32 v13, -1.0, v12
	v_sub_f32_e32 v10, v5, v10
	v_sub_f32_e32 v5, v5, v13
	v_add_f32_e32 v5, v7, v5
	v_add_f32_e32 v10, v7, v10
	;; [unrolled: 1-line block ×3, first 2 shown]
	v_rcp_f32_e32 v13, v7
	v_add_f32_e32 v11, v9, v10
	v_sub_f32_e32 v9, v11, v9
	v_sub_f32_e32 v9, v10, v9
	;; [unrolled: 1-line block ×4, first 2 shown]
	v_mul_f32_e32 v10, v11, v13
	v_mul_f32_e32 v12, v7, v10
	v_fma_f32 v39, v10, v7, -v12
	v_fmac_f32_e32 v39, v10, v5
	v_add_f32_e32 v40, v12, v39
	v_sub_f32_e32 v41, v11, v40
	v_sub_f32_e32 v11, v11, v41
	v_sub_f32_e32 v12, v40, v12
	v_sub_f32_e32 v11, v11, v40
	v_add_f32_e32 v9, v9, v11
	v_sub_f32_e32 v11, v12, v39
	v_add_f32_e32 v9, v11, v9
	v_add_f32_e32 v11, v41, v9
	v_mul_f32_e32 v12, v13, v11
	v_mul_f32_e32 v39, v7, v12
	v_fma_f32 v7, v12, v7, -v39
	v_fmac_f32_e32 v7, v12, v5
	v_sub_f32_e32 v5, v41, v11
	v_add_f32_e32 v5, v9, v5
	v_add_f32_e32 v9, v39, v7
	v_sub_f32_e32 v40, v11, v9
	v_sub_f32_e32 v11, v11, v40
	;; [unrolled: 1-line block ×4, first 2 shown]
	v_add_f32_e32 v5, v5, v9
	v_sub_f32_e32 v7, v39, v7
	v_add_f32_e32 v5, v7, v5
	v_add_f32_e32 v7, v10, v12
	;; [unrolled: 1-line block ×3, first 2 shown]
	v_sub_f32_e32 v9, v7, v10
	v_mul_f32_e32 v5, v13, v5
	v_sub_f32_e32 v9, v12, v9
	v_add_f32_e32 v5, v9, v5
	v_cvt_f32_i32_e32 v8, v8
	v_add_f32_e32 v9, v7, v5
	v_mul_f32_e32 v10, v9, v9
	v_mov_b32_e32 v11, 0x3ecc95a3
	v_fmac_f32_e32 v11, 0x3e9b6dac, v10
	v_mov_b32_e32 v12, 0x3f2aaada
	v_fmac_f32_e32 v12, v10, v11
	s_mov_b32 s0, 0x3f317218
	v_mul_f32_e32 v11, 0x3f317218, v8
	v_fma_f32 v13, v8, s0, -v11
	v_fmac_f32_e32 v13, 0xb102e308, v8
	v_sub_f32_e32 v7, v9, v7
	v_sub_f32_e32 v5, v5, v7
	v_add_f32_e32 v7, v11, v13
	v_sub_f32_e32 v8, v7, v11
	v_ldexp_f32 v11, v9, 1
	v_mul_f32_e32 v9, v9, v10
	v_mul_f32_e32 v9, v9, v12
	v_add_f32_e32 v10, v11, v9
	v_sub_f32_e32 v11, v10, v11
	v_ldexp_f32 v5, v5, 1
	v_sub_f32_e32 v9, v9, v11
	v_add_f32_e32 v5, v5, v9
	v_add_f32_e32 v9, v10, v5
	v_sub_f32_e32 v10, v9, v10
	v_sub_f32_e32 v5, v5, v10
	v_add_f32_e32 v10, v7, v9
	v_sub_f32_e32 v11, v10, v7
	v_sub_f32_e32 v12, v10, v11
	;; [unrolled: 1-line block ×5, first 2 shown]
	v_add_f32_e32 v7, v9, v7
	v_add_f32_e32 v9, v8, v5
	v_sub_f32_e32 v11, v9, v8
	v_sub_f32_e32 v12, v9, v11
	;; [unrolled: 1-line block ×4, first 2 shown]
	v_add_f32_e32 v7, v9, v7
	v_add_f32_e32 v5, v5, v8
	;; [unrolled: 1-line block ×3, first 2 shown]
	v_sub_f32_e32 v9, v8, v10
	v_sub_f32_e32 v7, v7, v9
	v_add_f32_e32 v5, v5, v7
	s_mov_b32 s0, 0xff800000
	v_add_f32_e32 v5, v8, v5
	v_cmp_eq_f32_e32 vcc, s0, v1
	v_cndmask_b32_e64 v5, v5, -v1, vcc
	v_mov_b32_e32 v7, 0x7fc00000
	v_cmp_nlt_f32_e32 vcc, 1.0, v1
	v_cndmask_b32_e32 v5, v7, v5, vcc
	v_mov_b32_e32 v7, 0xff800000
	v_cmp_neq_f32_e32 vcc, 1.0, v1
	s_mov_b32 s0, 0x33800000
	v_cndmask_b32_e32 v5, v7, v5, vcc
	v_log_f32_e32 v7, s0
	v_cmp_lt_f32_e64 s[0:1], |v1|, s0
	v_cndmask_b32_e64 v39, v5, -v1, s[0:1]
	s_mov_b32 s18, 0x3f317217
	v_mul_f32_e32 v1, 0x3f317217, v7
	v_fma_f32 v5, v7, s18, -v1
	v_fmac_f32_e32 v5, 0x3377d1cf, v7
	s_mov_b32 s19, 0x7f800000
	v_add_f32_e32 v1, v1, v5
	v_cmp_lt_f32_e64 vcc, |v7|, s19
	v_cndmask_b32_e32 v1, v7, v1, vcc
	v_div_scale_f32 v7, s[0:1], v39, v39, v1
	v_rcp_f32_e32 v8, v7
	v_mov_b32_e32 v5, v6
	s_mul_i32 s0, s6, s7
	s_mov_b32 s14, 0
	v_fma_f32 v6, -v7, v8, 1.0
	v_fmac_f32_e32 v8, v6, v8
	v_div_scale_f32 v6, vcc, v1, v39, v1
	v_mul_f32_e32 v9, v6, v8
	v_fma_f32 v10, -v7, v9, v6
	v_fmac_f32_e32 v9, v10, v8
	v_fma_f32 v6, -v7, v9, v6
	v_div_fmas_f32 v6, v6, v8, v9
	v_div_fixup_f32 v1, v6, v39, v1
	v_ceil_f32_e32 v1, v1
	v_cvt_i32_f32_e32 v40, v1
	v_add_u32_e32 v1, s0, v0
	s_mul_i32 s0, s17, s25
	s_mul_i32 s0, s0, s7
	s_lshl_b32 s24, s0, 2
	s_mul_i32 s0, s17, 3
	s_add_i32 s0, s6, s0
	s_mul_i32 s0, s0, s7
	v_mul_lo_u32 v41, s25, v1
	v_add_u32_e32 v1, s0, v0
	s_lshl_b32 s0, s17, 1
	s_add_i32 s0, s6, s0
	s_mul_i32 s0, s0, s7
	v_mul_lo_u32 v42, s25, v1
	v_add_u32_e32 v1, s0, v0
	s_add_i32 s0, s6, s17
	s_mul_i32 s0, s0, s7
	v_add_u32_e32 v0, s0, v0
	s_lshl_b32 s20, s12, 1
	s_mov_b32 s21, s14
	s_mul_i32 s22, s12, 3
	s_mov_b32 s23, s14
	v_mul_lo_u32 v43, s25, v1
	v_mul_lo_u32 v44, s25, v0
	s_mov_b64 s[4:5], 0
	s_mov_b32 s17, 0x800000
	v_mov_b32_e32 v45, 0x4f800000
	v_mov_b32_e32 v46, 0x41b17218
	s_mov_b32 s25, s14
	v_mov_b32_e32 v47, v16
	v_mov_b32_e32 v48, v17
	s_branch .LBB8_8
.LBB8_7:                                ;   in Loop: Header=BB8_8 Depth=1
	s_or_b64 exec, exec, s[0:1]
	v_add_co_u32_e32 v16, vcc, s13, v16
	v_addc_co_u32_e32 v17, vcc, 0, v17, vcc
	v_mov_b32_e32 v9, v0
	s_add_i32 s25, s25, s24
	v_cmp_le_i64_e32 vcc, s[2:3], v[16:17]
	v_pk_mov_b32 v[2:3], v[6:7], v[6:7] op_sel:[0,1]
	s_or_b64 s[4:5], vcc, s[4:5]
	v_pk_mov_b32 v[4:5], v[8:9], v[8:9] op_sel:[0,1]
	s_barrier
	s_andn2_b64 exec, exec, s[4:5]
	s_cbranch_execz .LBB8_26
.LBB8_8:                                ; =>This Inner Loop Header: Depth=1
	v_add_co_u32_e32 v29, vcc, 1, v29
	v_cndmask_b32_e64 v0, 0, 1, vcc
	v_addc_co_u32_e32 v30, vcc, 0, v30, vcc
	v_cmp_eq_u32_e32 vcc, 0, v30
	v_cndmask_b32_e32 v0, 0, v0, vcc
	v_add_u32_e32 v47, v0, v47
	v_cmp_eq_u32_e32 vcc, 0, v47
	v_cndmask_b32_e32 v0, 0, v0, vcc
	v_add_u32_e32 v48, v0, v48
	v_mad_u64_u32 v[0:1], s[0:1], v29, s15, 0
	v_mad_u64_u32 v[6:7], s[0:1], v47, s16, 0
	v_xor_b32_e32 v1, v1, v15
	v_xor_b32_e32 v7, v7, v14
	v_xor_b32_e32 v1, v48, v1
	v_xor_b32_e32 v7, v30, v7
	v_mad_u64_u32 v[10:11], s[0:1], v1, s16, 0
	v_mad_u64_u32 v[8:9], s[0:1], v7, s15, 0
	v_xor_b32_e32 v1, v28, v11
	v_xor_b32_e32 v1, v1, v6
	v_xor_b32_e32 v6, v31, v9
	v_xor_b32_e32 v6, v6, v0
	;; [unrolled: 6-line block ×10, first 2 shown]
	v_mov_b32_e32 v7, v12
	v_mov_b32_e32 v8, v13
	v_cmp_lt_i32_e32 vcc, 1, v18
	s_and_saveexec_b64 s[0:1], vcc
	s_xor_b64 s[0:1], exec, s[0:1]
	s_cbranch_execnz .LBB8_18
; %bb.9:                                ;   in Loop: Header=BB8_8 Depth=1
	s_andn2_saveexec_b64 s[0:1], s[0:1]
	s_cbranch_execnz .LBB8_23
.LBB8_10:                               ;   in Loop: Header=BB8_8 Depth=1
	s_or_b64 exec, exec, s[0:1]
	v_cmp_gt_i64_e32 vcc, s[8:9], v[16:17]
	s_and_saveexec_b64 s[6:7], vcc
	s_cbranch_execz .LBB8_12
.LBB8_11:                               ;   in Loop: Header=BB8_8 Depth=1
	v_lshrrev_b32_e32 v1, 11, v3
	v_cvt_f64_u32_e32 v[10:11], v1
	v_ldexp_f64 v[10:11], v[10:11], 32
	v_cvt_f64_u32_e32 v[2:3], v2
	v_add_f64 v[2:3], v[10:11], v[2:3]
	v_mov_b32_e32 v10, 0
	v_mov_b32_e32 v11, 0x3ca00000
	v_fmac_f64_e32 v[10:11], 0x3ca00000, v[2:3]
	v_cvt_f32_f64_e32 v1, v[10:11]
	v_cmp_gt_f32_e32 vcc, s17, v1
	v_cndmask_b32_e32 v2, 1.0, v45, vcc
	v_mul_f32_e32 v1, v1, v2
	v_log_f32_e32 v1, v1
	v_add_u32_e32 v9, s25, v41
	v_ashrrev_i32_e32 v10, 31, v9
	v_mov_b32_e32 v11, s11
	v_mul_f32_e32 v2, 0x3f317217, v1
	v_fma_f32 v3, v1, s18, -v2
	v_fmac_f32_e32 v3, 0x3377d1cf, v1
	v_add_f32_e32 v2, v2, v3
	v_cmp_lt_f32_e64 s[0:1], |v1|, s19
	v_cndmask_b32_e64 v1, v1, v2, s[0:1]
	v_cndmask_b32_e32 v2, 0, v46, vcc
	v_sub_f32_e32 v1, v1, v2
	v_div_scale_f32 v2, s[0:1], v39, v39, v1
	v_rcp_f32_e32 v3, v2
	v_fma_f32 v12, -v2, v3, 1.0
	v_fmac_f32_e32 v3, v12, v3
	v_div_scale_f32 v12, vcc, v1, v39, v1
	v_mul_f32_e32 v13, v12, v3
	v_fma_f32 v49, -v2, v13, v12
	v_fmac_f32_e32 v13, v49, v3
	v_fma_f32 v2, -v2, v13, v12
	v_div_fmas_f32 v2, v2, v3, v13
	v_div_fixup_f32 v1, v2, v39, v1
	v_ceil_f32_e32 v1, v1
	v_cvt_i32_f32_e32 v1, v1
	v_add_co_u32_e32 v2, vcc, s10, v9
	v_addc_co_u32_e32 v3, vcc, v11, v10, vcc
	global_store_dword v[2:3], v1, off
.LBB8_12:                               ;   in Loop: Header=BB8_8 Depth=1
	s_or_b64 exec, exec, s[6:7]
	v_mov_b32_e32 v1, s14
	v_add_co_u32_e32 v2, vcc, s12, v16
	v_addc_co_u32_e32 v3, vcc, v1, v17, vcc
	v_cmp_gt_i64_e32 vcc, s[8:9], v[2:3]
	s_and_saveexec_b64 s[6:7], vcc
	s_cbranch_execz .LBB8_14
; %bb.13:                               ;   in Loop: Header=BB8_8 Depth=1
	v_lshrrev_b32_e32 v1, 11, v5
	v_cvt_f64_u32_e32 v[2:3], v1
	v_ldexp_f64 v[2:3], v[2:3], 32
	v_cvt_f64_u32_e32 v[4:5], v4
	v_add_f64 v[2:3], v[2:3], v[4:5]
	v_mov_b32_e32 v4, 0
	v_mov_b32_e32 v5, 0x3ca00000
	v_fmac_f64_e32 v[4:5], 0x3ca00000, v[2:3]
	v_cvt_f32_f64_e32 v1, v[4:5]
	v_cmp_gt_f32_e32 vcc, s17, v1
	v_cndmask_b32_e32 v2, 1.0, v45, vcc
	v_mul_f32_e32 v1, v1, v2
	v_log_f32_e32 v1, v1
	v_add_u32_e32 v4, s25, v44
	v_ashrrev_i32_e32 v5, 31, v4
	v_mov_b32_e32 v9, s11
	v_mul_f32_e32 v2, 0x3f317217, v1
	v_fma_f32 v3, v1, s18, -v2
	v_fmac_f32_e32 v3, 0x3377d1cf, v1
	v_add_f32_e32 v2, v2, v3
	v_cmp_lt_f32_e64 s[0:1], |v1|, s19
	v_cndmask_b32_e64 v1, v1, v2, s[0:1]
	v_cndmask_b32_e32 v2, 0, v46, vcc
	v_sub_f32_e32 v1, v1, v2
	v_div_scale_f32 v2, s[0:1], v39, v39, v1
	v_rcp_f32_e32 v3, v2
	v_fma_f32 v10, -v2, v3, 1.0
	v_fmac_f32_e32 v3, v10, v3
	v_div_scale_f32 v10, vcc, v1, v39, v1
	v_mul_f32_e32 v11, v10, v3
	v_fma_f32 v12, -v2, v11, v10
	v_fmac_f32_e32 v11, v12, v3
	v_fma_f32 v2, -v2, v11, v10
	v_div_fmas_f32 v2, v2, v3, v11
	v_div_fixup_f32 v1, v2, v39, v1
	v_ceil_f32_e32 v1, v1
	v_cvt_i32_f32_e32 v1, v1
	v_add_co_u32_e32 v2, vcc, s10, v4
	v_addc_co_u32_e32 v3, vcc, v9, v5, vcc
	global_store_dword v[2:3], v1, off
.LBB8_14:                               ;   in Loop: Header=BB8_8 Depth=1
	s_or_b64 exec, exec, s[6:7]
	v_mov_b32_e32 v1, s21
	v_add_co_u32_e32 v2, vcc, s20, v16
	v_addc_co_u32_e32 v3, vcc, v1, v17, vcc
	v_cmp_gt_i64_e32 vcc, s[8:9], v[2:3]
	s_and_saveexec_b64 s[0:1], vcc
	s_cbranch_execz .LBB8_16
; %bb.15:                               ;   in Loop: Header=BB8_8 Depth=1
	v_add_u32_e32 v1, s25, v43
	v_ashrrev_i32_e32 v3, 31, v1
	v_mov_b32_e32 v4, s11
	v_add_co_u32_e32 v2, vcc, s10, v1
	v_addc_co_u32_e32 v3, vcc, v4, v3, vcc
	global_store_dword v[2:3], v40, off
.LBB8_16:                               ;   in Loop: Header=BB8_8 Depth=1
	s_or_b64 exec, exec, s[0:1]
	v_mov_b32_e32 v1, s23
	v_add_co_u32_e32 v2, vcc, s22, v16
	v_addc_co_u32_e32 v3, vcc, v1, v17, vcc
	v_cmp_gt_i64_e32 vcc, s[8:9], v[2:3]
	s_and_saveexec_b64 s[0:1], vcc
	s_cbranch_execz .LBB8_7
; %bb.17:                               ;   in Loop: Header=BB8_8 Depth=1
	v_add_u32_e32 v1, s25, v42
	v_ashrrev_i32_e32 v3, 31, v1
	v_mov_b32_e32 v4, s11
	v_add_co_u32_e32 v2, vcc, s10, v1
	v_addc_co_u32_e32 v3, vcc, v4, v3, vcc
	global_store_dword v[2:3], v40, off
	s_branch .LBB8_7
.LBB8_18:                               ;   in Loop: Header=BB8_8 Depth=1
	v_cmp_lt_i32_e32 vcc, 2, v18
	s_and_saveexec_b64 s[6:7], vcc
	s_xor_b64 s[6:7], exec, s[6:7]
; %bb.19:                               ;   in Loop: Header=BB8_8 Depth=1
	v_mov_b32_e32 v10, v5
	v_mov_b32_e32 v11, v6
	v_pk_mov_b32 v[2:3], v[10:11], v[10:11] op_sel:[0,1]
	v_pk_mov_b32 v[4:5], v[12:13], v[12:13] op_sel:[0,1]
                                        ; implicit-def: $vgpr12_vgpr13
; %bb.20:                               ;   in Loop: Header=BB8_8 Depth=1
	s_andn2_saveexec_b64 s[6:7], s[6:7]
; %bb.21:                               ;   in Loop: Header=BB8_8 Depth=1
	v_mov_b32_e32 v2, v4
	v_mov_b32_e32 v3, v5
	;; [unrolled: 1-line block ×4, first 2 shown]
; %bb.22:                               ;   in Loop: Header=BB8_8 Depth=1
	s_or_b64 exec, exec, s[6:7]
	s_andn2_saveexec_b64 s[0:1], s[0:1]
	s_cbranch_execz .LBB8_10
.LBB8_23:                               ;   in Loop: Header=BB8_8 Depth=1
	v_cmp_eq_u32_e32 vcc, 1, v18
	s_and_saveexec_b64 s[6:7], vcc
; %bb.24:                               ;   in Loop: Header=BB8_8 Depth=1
	v_mov_b32_e32 v2, v3
	v_mov_b32_e32 v3, v4
	v_mov_b32_e32 v4, v5
	v_mov_b32_e32 v5, v6
; %bb.25:                               ;   in Loop: Header=BB8_8 Depth=1
	s_or_b64 exec, exec, s[6:7]
	s_or_b64 exec, exec, s[0:1]
	v_cmp_gt_i64_e32 vcc, s[8:9], v[16:17]
	s_and_saveexec_b64 s[6:7], vcc
	s_cbranch_execnz .LBB8_11
	s_branch .LBB8_12
.LBB8_26:
	s_endpgm
.LBB8_27:
                                        ; implicit-def: $sgpr2_sgpr3
	s_andn2_b64 vcc, exec, s[0:1]
	s_cbranch_vccz .LBB8_4
	s_branch .LBB8_5
	.section	.rodata,"a",@progbits
	.p2align	6, 0x0
	.amdhsa_kernel _ZN2at6native12_GLOBAL__N_143distribution_elementwise_grid_stride_kernelIfLi4EZNS0_9templates4cuda21uniform_and_transformIifPNS_17CUDAGeneratorImplEZZZNS4_16geometric_kernelIS7_EEvRNS_18TensorIteratorBaseEdT_ENKUlvE_clEvENKUlvE1_clEvEUlfE_EEvSA_T1_T2_EUlP25hiprandStatePhilox4_32_10E_ZNS1_27distribution_nullary_kernelIif15HIP_vector_typeIdLj2EES7_SJ_SE_EEvSA_SG_RKT3_T4_EUlifE_EEvlNS_15PhiloxCudaStateESF_SG_
		.amdhsa_group_segment_fixed_size 0
		.amdhsa_private_segment_fixed_size 0
		.amdhsa_kernarg_size 328
		.amdhsa_user_sgpr_count 6
		.amdhsa_user_sgpr_private_segment_buffer 1
		.amdhsa_user_sgpr_dispatch_ptr 0
		.amdhsa_user_sgpr_queue_ptr 0
		.amdhsa_user_sgpr_kernarg_segment_ptr 1
		.amdhsa_user_sgpr_dispatch_id 0
		.amdhsa_user_sgpr_flat_scratch_init 0
		.amdhsa_user_sgpr_kernarg_preload_length 0
		.amdhsa_user_sgpr_kernarg_preload_offset 0
		.amdhsa_user_sgpr_private_segment_size 0
		.amdhsa_uses_dynamic_stack 0
		.amdhsa_system_sgpr_private_segment_wavefront_offset 0
		.amdhsa_system_sgpr_workgroup_id_x 1
		.amdhsa_system_sgpr_workgroup_id_y 0
		.amdhsa_system_sgpr_workgroup_id_z 0
		.amdhsa_system_sgpr_workgroup_info 0
		.amdhsa_system_vgpr_workitem_id 0
		.amdhsa_next_free_vgpr 52
		.amdhsa_next_free_sgpr 26
		.amdhsa_accum_offset 52
		.amdhsa_reserve_vcc 1
		.amdhsa_reserve_flat_scratch 0
		.amdhsa_float_round_mode_32 0
		.amdhsa_float_round_mode_16_64 0
		.amdhsa_float_denorm_mode_32 3
		.amdhsa_float_denorm_mode_16_64 3
		.amdhsa_dx10_clamp 1
		.amdhsa_ieee_mode 1
		.amdhsa_fp16_overflow 0
		.amdhsa_tg_split 0
		.amdhsa_exception_fp_ieee_invalid_op 0
		.amdhsa_exception_fp_denorm_src 0
		.amdhsa_exception_fp_ieee_div_zero 0
		.amdhsa_exception_fp_ieee_overflow 0
		.amdhsa_exception_fp_ieee_underflow 0
		.amdhsa_exception_fp_ieee_inexact 0
		.amdhsa_exception_int_div_zero 0
	.end_amdhsa_kernel
	.section	.text._ZN2at6native12_GLOBAL__N_143distribution_elementwise_grid_stride_kernelIfLi4EZNS0_9templates4cuda21uniform_and_transformIifPNS_17CUDAGeneratorImplEZZZNS4_16geometric_kernelIS7_EEvRNS_18TensorIteratorBaseEdT_ENKUlvE_clEvENKUlvE1_clEvEUlfE_EEvSA_T1_T2_EUlP25hiprandStatePhilox4_32_10E_ZNS1_27distribution_nullary_kernelIif15HIP_vector_typeIdLj2EES7_SJ_SE_EEvSA_SG_RKT3_T4_EUlifE_EEvlNS_15PhiloxCudaStateESF_SG_,"axG",@progbits,_ZN2at6native12_GLOBAL__N_143distribution_elementwise_grid_stride_kernelIfLi4EZNS0_9templates4cuda21uniform_and_transformIifPNS_17CUDAGeneratorImplEZZZNS4_16geometric_kernelIS7_EEvRNS_18TensorIteratorBaseEdT_ENKUlvE_clEvENKUlvE1_clEvEUlfE_EEvSA_T1_T2_EUlP25hiprandStatePhilox4_32_10E_ZNS1_27distribution_nullary_kernelIif15HIP_vector_typeIdLj2EES7_SJ_SE_EEvSA_SG_RKT3_T4_EUlifE_EEvlNS_15PhiloxCudaStateESF_SG_,comdat
.Lfunc_end8:
	.size	_ZN2at6native12_GLOBAL__N_143distribution_elementwise_grid_stride_kernelIfLi4EZNS0_9templates4cuda21uniform_and_transformIifPNS_17CUDAGeneratorImplEZZZNS4_16geometric_kernelIS7_EEvRNS_18TensorIteratorBaseEdT_ENKUlvE_clEvENKUlvE1_clEvEUlfE_EEvSA_T1_T2_EUlP25hiprandStatePhilox4_32_10E_ZNS1_27distribution_nullary_kernelIif15HIP_vector_typeIdLj2EES7_SJ_SE_EEvSA_SG_RKT3_T4_EUlifE_EEvlNS_15PhiloxCudaStateESF_SG_, .Lfunc_end8-_ZN2at6native12_GLOBAL__N_143distribution_elementwise_grid_stride_kernelIfLi4EZNS0_9templates4cuda21uniform_and_transformIifPNS_17CUDAGeneratorImplEZZZNS4_16geometric_kernelIS7_EEvRNS_18TensorIteratorBaseEdT_ENKUlvE_clEvENKUlvE1_clEvEUlfE_EEvSA_T1_T2_EUlP25hiprandStatePhilox4_32_10E_ZNS1_27distribution_nullary_kernelIif15HIP_vector_typeIdLj2EES7_SJ_SE_EEvSA_SG_RKT3_T4_EUlifE_EEvlNS_15PhiloxCudaStateESF_SG_
                                        ; -- End function
	.section	.AMDGPU.csdata,"",@progbits
; Kernel info:
; codeLenInByte = 3480
; NumSgprs: 30
; NumVgprs: 52
; NumAgprs: 0
; TotalNumVgprs: 52
; ScratchSize: 0
; MemoryBound: 0
; FloatMode: 240
; IeeeMode: 1
; LDSByteSize: 0 bytes/workgroup (compile time only)
; SGPRBlocks: 3
; VGPRBlocks: 6
; NumSGPRsForWavesPerEU: 30
; NumVGPRsForWavesPerEU: 52
; AccumOffset: 52
; Occupancy: 8
; WaveLimiterHint : 0
; COMPUTE_PGM_RSRC2:SCRATCH_EN: 0
; COMPUTE_PGM_RSRC2:USER_SGPR: 6
; COMPUTE_PGM_RSRC2:TRAP_HANDLER: 0
; COMPUTE_PGM_RSRC2:TGID_X_EN: 1
; COMPUTE_PGM_RSRC2:TGID_Y_EN: 0
; COMPUTE_PGM_RSRC2:TGID_Z_EN: 0
; COMPUTE_PGM_RSRC2:TIDIG_COMP_CNT: 0
; COMPUTE_PGM_RSRC3_GFX90A:ACCUM_OFFSET: 12
; COMPUTE_PGM_RSRC3_GFX90A:TG_SPLIT: 0
	.section	.text._ZN2at6native12_GLOBAL__N_143distribution_elementwise_grid_stride_kernelIfLi4EZNS0_9templates4cuda21uniform_and_transformIifPNS_17CUDAGeneratorImplEZZZNS4_16geometric_kernelIS7_EEvRNS_18TensorIteratorBaseEdT_ENKUlvE_clEvENKUlvE1_clEvEUlfE_EEvSA_T1_T2_EUlP25hiprandStatePhilox4_32_10E_ZNS1_27distribution_nullary_kernelIif15HIP_vector_typeIdLj2EES7_SJ_SE_EEvSA_SG_RKT3_T4_EUlifE0_EEvlNS_15PhiloxCudaStateESF_SG_,"axG",@progbits,_ZN2at6native12_GLOBAL__N_143distribution_elementwise_grid_stride_kernelIfLi4EZNS0_9templates4cuda21uniform_and_transformIifPNS_17CUDAGeneratorImplEZZZNS4_16geometric_kernelIS7_EEvRNS_18TensorIteratorBaseEdT_ENKUlvE_clEvENKUlvE1_clEvEUlfE_EEvSA_T1_T2_EUlP25hiprandStatePhilox4_32_10E_ZNS1_27distribution_nullary_kernelIif15HIP_vector_typeIdLj2EES7_SJ_SE_EEvSA_SG_RKT3_T4_EUlifE0_EEvlNS_15PhiloxCudaStateESF_SG_,comdat
	.globl	_ZN2at6native12_GLOBAL__N_143distribution_elementwise_grid_stride_kernelIfLi4EZNS0_9templates4cuda21uniform_and_transformIifPNS_17CUDAGeneratorImplEZZZNS4_16geometric_kernelIS7_EEvRNS_18TensorIteratorBaseEdT_ENKUlvE_clEvENKUlvE1_clEvEUlfE_EEvSA_T1_T2_EUlP25hiprandStatePhilox4_32_10E_ZNS1_27distribution_nullary_kernelIif15HIP_vector_typeIdLj2EES7_SJ_SE_EEvSA_SG_RKT3_T4_EUlifE0_EEvlNS_15PhiloxCudaStateESF_SG_ ; -- Begin function _ZN2at6native12_GLOBAL__N_143distribution_elementwise_grid_stride_kernelIfLi4EZNS0_9templates4cuda21uniform_and_transformIifPNS_17CUDAGeneratorImplEZZZNS4_16geometric_kernelIS7_EEvRNS_18TensorIteratorBaseEdT_ENKUlvE_clEvENKUlvE1_clEvEUlfE_EEvSA_T1_T2_EUlP25hiprandStatePhilox4_32_10E_ZNS1_27distribution_nullary_kernelIif15HIP_vector_typeIdLj2EES7_SJ_SE_EEvSA_SG_RKT3_T4_EUlifE0_EEvlNS_15PhiloxCudaStateESF_SG_
	.p2align	8
	.type	_ZN2at6native12_GLOBAL__N_143distribution_elementwise_grid_stride_kernelIfLi4EZNS0_9templates4cuda21uniform_and_transformIifPNS_17CUDAGeneratorImplEZZZNS4_16geometric_kernelIS7_EEvRNS_18TensorIteratorBaseEdT_ENKUlvE_clEvENKUlvE1_clEvEUlfE_EEvSA_T1_T2_EUlP25hiprandStatePhilox4_32_10E_ZNS1_27distribution_nullary_kernelIif15HIP_vector_typeIdLj2EES7_SJ_SE_EEvSA_SG_RKT3_T4_EUlifE0_EEvlNS_15PhiloxCudaStateESF_SG_,@function
_ZN2at6native12_GLOBAL__N_143distribution_elementwise_grid_stride_kernelIfLi4EZNS0_9templates4cuda21uniform_and_transformIifPNS_17CUDAGeneratorImplEZZZNS4_16geometric_kernelIS7_EEvRNS_18TensorIteratorBaseEdT_ENKUlvE_clEvENKUlvE1_clEvEUlfE_EEvSA_T1_T2_EUlP25hiprandStatePhilox4_32_10E_ZNS1_27distribution_nullary_kernelIif15HIP_vector_typeIdLj2EES7_SJ_SE_EEvSA_SG_RKT3_T4_EUlifE0_EEvlNS_15PhiloxCudaStateESF_SG_: ; @_ZN2at6native12_GLOBAL__N_143distribution_elementwise_grid_stride_kernelIfLi4EZNS0_9templates4cuda21uniform_and_transformIifPNS_17CUDAGeneratorImplEZZZNS4_16geometric_kernelIS7_EEvRNS_18TensorIteratorBaseEdT_ENKUlvE_clEvENKUlvE1_clEvEUlfE_EEvSA_T1_T2_EUlP25hiprandStatePhilox4_32_10E_ZNS1_27distribution_nullary_kernelIif15HIP_vector_typeIdLj2EES7_SJ_SE_EEvSA_SG_RKT3_T4_EUlifE0_EEvlNS_15PhiloxCudaStateESF_SG_
; %bb.0:
	s_load_dword s2, s[4:5], 0x20
	s_load_dwordx2 s[0:1], s[4:5], 0x10
	s_load_dwordx4 s[24:27], s[4:5], 0x0
	s_waitcnt lgkmcnt(0)
	s_bitcmp0_b32 s2, 0
	s_mov_b32 s2, 0
	v_pk_mov_b32 v[2:3], s[0:1], s[0:1] op_sel:[0,1]
	v_pk_mov_b32 v[10:11], s[26:27], s[26:27] op_sel:[0,1]
	s_cbranch_scc1 .LBB9_2
; %bb.1:
	v_pk_mov_b32 v[2:3], s[0:1], s[0:1] op_sel:[0,1]
	flat_load_dwordx2 v[2:3], v[2:3]
	v_pk_mov_b32 v[4:5], s[26:27], s[26:27] op_sel:[0,1]
	flat_load_dwordx2 v[10:11], v[4:5]
	s_load_dwordx2 s[0:1], s[4:5], 0x18
	s_waitcnt lgkmcnt(0)
	v_mov_b32_e32 v1, s1
	s_waitcnt vmcnt(0)
	v_add_co_u32_e32 v2, vcc, s0, v2
	v_addc_co_u32_e32 v3, vcc, v3, v1, vcc
.LBB9_2:
	s_load_dword s0, s[4:5], 0x154
	s_load_dword s7, s[4:5], 0x148
	s_waitcnt lgkmcnt(0)
	s_and_b32 s8, s0, 0xffff
	s_add_u32 s9, s24, -1
	s_mul_i32 s33, s7, s8
	s_addc_u32 s3, s25, -1
	s_lshl_b32 s58, s33, 2
	s_cmp_lg_u64 s[2:3], 0
	s_mov_b64 s[0:1], -1
	s_cbranch_scc0 .LBB9_83
; %bb.3:
	v_cvt_f32_u32_e32 v1, s58
	v_cvt_f32_ubyte0_e32 v4, 0
	s_sub_u32 s2, 0, s58
	s_subb_u32 s10, 0, 0
	v_madmk_f32 v1, v4, 0x4f800000, v1
	v_rcp_f32_e32 v1, v1
	v_mul_f32_e32 v1, 0x5f7ffffc, v1
	v_mul_f32_e32 v4, 0x2f800000, v1
	v_trunc_f32_e32 v4, v4
	v_madmk_f32 v1, v4, 0xcf800000, v1
	v_cvt_u32_f32_e32 v4, v4
	v_cvt_u32_f32_e32 v1, v1
	v_readfirstlane_b32 s11, v4
	v_readfirstlane_b32 s12, v1
	s_mul_i32 s13, s2, s11
	s_mul_hi_u32 s15, s2, s12
	s_mul_i32 s14, s10, s12
	s_add_i32 s13, s15, s13
	s_add_i32 s13, s13, s14
	s_mul_i32 s16, s2, s12
	s_mul_hi_u32 s14, s12, s13
	s_mul_i32 s15, s12, s13
	s_mul_hi_u32 s12, s12, s16
	s_add_u32 s12, s12, s15
	s_addc_u32 s14, 0, s14
	s_mul_hi_u32 s17, s11, s16
	s_mul_i32 s16, s11, s16
	s_add_u32 s12, s12, s16
	s_mul_hi_u32 s15, s11, s13
	s_addc_u32 s12, s14, s17
	s_addc_u32 s14, s15, 0
	s_mul_i32 s13, s11, s13
	s_add_u32 s12, s12, s13
	s_addc_u32 s13, 0, s14
	v_add_co_u32_e32 v1, vcc, s12, v1
	s_cmp_lg_u64 vcc, 0
	s_addc_u32 s11, s11, s13
	v_readfirstlane_b32 s13, v1
	s_mul_i32 s12, s2, s11
	s_mul_hi_u32 s14, s2, s13
	s_add_i32 s12, s14, s12
	s_mul_i32 s10, s10, s13
	s_add_i32 s12, s12, s10
	s_mul_i32 s2, s2, s13
	s_mul_hi_u32 s14, s11, s2
	s_mul_i32 s15, s11, s2
	s_mul_i32 s17, s13, s12
	s_mul_hi_u32 s2, s13, s2
	s_mul_hi_u32 s16, s13, s12
	s_add_u32 s2, s2, s17
	s_addc_u32 s13, 0, s16
	s_add_u32 s2, s2, s15
	s_mul_hi_u32 s10, s11, s12
	s_addc_u32 s2, s13, s14
	s_addc_u32 s10, s10, 0
	s_mul_i32 s12, s11, s12
	s_add_u32 s2, s2, s12
	s_addc_u32 s10, 0, s10
	v_add_co_u32_e32 v1, vcc, s2, v1
	s_cmp_lg_u64 vcc, 0
	s_addc_u32 s12, s11, s10
	s_ashr_i32 s10, s3, 31
	s_add_u32 s2, s9, s10
	s_mov_b32 s11, s10
	s_addc_u32 s3, s3, s10
	s_xor_b64 s[2:3], s[2:3], s[10:11]
	v_readfirstlane_b32 s15, v1
	s_mul_i32 s14, s2, s12
	s_mul_hi_u32 s16, s2, s15
	s_mul_hi_u32 s13, s2, s12
	s_add_u32 s14, s16, s14
	s_addc_u32 s13, 0, s13
	s_mul_hi_u32 s17, s3, s15
	s_mul_i32 s15, s3, s15
	s_add_u32 s14, s14, s15
	s_mul_hi_u32 s16, s3, s12
	s_addc_u32 s13, s13, s17
	s_addc_u32 s14, s16, 0
	s_mul_i32 s12, s3, s12
	s_add_u32 s12, s13, s12
	s_addc_u32 s13, 0, s14
	s_add_u32 s14, s12, 1
	s_addc_u32 s15, s13, 0
	s_add_u32 s16, s12, 2
	s_mul_i32 s18, s58, s13
	s_mul_hi_u32 s19, s58, s12
	s_addc_u32 s17, s13, 0
	s_add_i32 s19, s19, s18
	s_mul_i32 s18, s58, s12
	v_mov_b32_e32 v1, s18
	v_sub_co_u32_e32 v1, vcc, s2, v1
	s_cmp_lg_u64 vcc, 0
	s_subb_u32 s2, s3, s19
	v_subrev_co_u32_e32 v4, vcc, s58, v1
	s_cmp_lg_u64 vcc, 0
	s_subb_u32 s3, s2, 0
	v_readfirstlane_b32 s18, v4
	s_cmp_ge_u32 s18, s58
	s_cselect_b32 s18, -1, 0
	s_cmp_eq_u32 s3, 0
	s_cselect_b32 s3, s18, -1
	s_cmp_lg_u32 s3, 0
	s_cselect_b32 s3, s17, s15
	v_readfirstlane_b32 s15, v1
	s_cselect_b32 s14, s16, s14
	s_cmp_ge_u32 s15, s58
	s_cselect_b32 s15, -1, 0
	s_cmp_eq_u32 s2, 0
	s_cselect_b32 s2, s15, -1
	s_cmp_lg_u32 s2, 0
	s_cselect_b32 s3, s3, s13
	s_cselect_b32 s2, s14, s12
	s_xor_b64 s[2:3], s[2:3], s[10:11]
	s_sub_u32 s2, s2, s10
	s_subb_u32 s3, s3, s10
	s_cbranch_execnz .LBB9_5
.LBB9_4:
	v_cvt_f32_u32_e32 v1, s58
	s_sub_i32 s0, 0, s58
	s_mov_b32 s3, 0
	v_rcp_iflag_f32_e32 v1, v1
	v_mul_f32_e32 v1, 0x4f7ffffe, v1
	v_cvt_u32_f32_e32 v1, v1
	v_readfirstlane_b32 s1, v1
	s_mul_i32 s0, s0, s1
	s_mul_hi_u32 s0, s1, s0
	s_add_i32 s1, s1, s0
	s_mul_hi_u32 s0, s9, s1
	s_mul_i32 s2, s0, s58
	s_sub_i32 s2, s9, s2
	s_add_i32 s1, s0, 1
	s_sub_i32 s9, s2, s58
	s_cmp_ge_u32 s2, s58
	s_cselect_b32 s0, s1, s0
	s_cselect_b32 s2, s9, s2
	s_add_i32 s1, s0, 1
	s_cmp_ge_u32 s2, s58
	s_cselect_b32 s2, s1, s0
.LBB9_5:
	v_mov_b32_e32 v1, 0
	v_mov_b32_e32 v4, s6
	v_mad_u64_u32 v[12:13], s[0:1], s8, v4, v[0:1]
	s_add_u32 s0, s2, 1
	s_addc_u32 s1, s3, 0
	s_mul_hi_u32 s2, s7, s8
	s_mul_i32 s1, s33, s1
	s_mul_hi_u32 s3, s33, s0
	s_add_i32 s1, s3, s1
	s_mul_i32 s2, s2, s0
	s_add_i32 s1, s1, s2
	s_mul_i32 s0, s33, s0
	s_lshl_b64 s[26:27], s[0:1], 2
	v_cmp_gt_i64_e32 vcc, s[26:27], v[12:13]
	s_and_saveexec_b64 s[0:1], vcc
	s_cbranch_execz .LBB9_82
; %bb.6:
	s_mov_b32 s0, 0x5384540f
	v_mov_b32_e32 v0, v11
	v_add_co_u32_e32 v20, vcc, s0, v10
	s_mov_b32 s0, 0x646e171e
	v_add_co_u32_e32 v21, vcc, s0, v0
	s_mov_b32 s0, 0x1715609d
	v_add_co_u32_e32 v22, vcc, s0, v10
	s_mov_b32 s0, 0xed9eba14
	v_add_co_u32_e32 v23, vcc, s0, v0
	s_mov_b32 s0, 0xdaa66d2b
	v_add_co_u32_e32 v24, vcc, s0, v10
	s_mov_b32 s0, 0x76cf5d0a
	v_add_co_u32_e32 v25, vcc, s0, v0
	s_mov_b32 s0, 0x9e3779b9
	v_alignbit_b32 v27, v3, v2, 2
	s_mov_b32 s60, 0xd2511f53
	v_add_co_u32_e32 v26, vcc, s0, v10
	v_mad_u64_u32 v[4:5], s[0:1], v27, s60, 0
	v_xor_b32_e32 v1, v5, v11
	v_xor_b32_e32 v1, v1, v13
	s_mov_b32 s61, 0xcd9e8d57
	v_mad_u64_u32 v[6:7], s[0:1], v1, s61, 0
	v_xor_b32_e32 v1, v26, v7
	v_mad_u64_u32 v[8:9], s[0:1], v12, s61, 0
	v_and_b32_e32 v16, 3, v2
	v_xor_b32_e32 v1, v1, v8
	v_xor_b32_e32 v2, v10, v9
	v_lshrrev_b32_e32 v28, 2, v3
	v_mad_u64_u32 v[14:15], s[0:1], v1, s60, 0
	v_xor_b32_e32 v2, v2, v28
	v_xor_b32_e32 v1, v25, v15
	v_mad_u64_u32 v[2:3], s[0:1], v2, s60, 0
	v_xor_b32_e32 v1, v1, v2
	v_mad_u64_u32 v[8:9], s[0:1], v1, s61, 0
	s_mov_b32 s0, 0xbb67ae85
	v_add_co_u32_e32 v29, vcc, s0, v0
	v_xor_b32_e32 v2, v29, v3
	v_xor_b32_e32 v2, v2, v4
	v_xor_b32_e32 v1, v24, v9
	v_mad_u64_u32 v[2:3], s[0:1], v2, s61, 0
	v_xor_b32_e32 v1, v1, v2
	v_mad_u64_u32 v[4:5], s[0:1], v1, s60, 0
	s_mov_b32 s0, 0x3c6ef372
	v_add_co_u32_e32 v30, vcc, s0, v10
	v_xor_b32_e32 v2, v30, v3
	;; [unrolled: 8-line block ×6, first 2 shown]
	v_add_co_u32_e32 v19, vcc, 0xdb3d7428, v0
	v_xor_b32_e32 v2, v2, v6
	v_xor_b32_e32 v1, v19, v39
	v_mad_u64_u32 v[2:3], s[0:1], v2, s60, 0
	v_xor_b32_e32 v1, v1, v2
	v_mad_u64_u32 v[40:41], s[0:1], v1, s61, 0
	s_mov_b32 s0, 0x1fd5c5a3
	v_add_co_u32_e32 v35, vcc, s0, v0
	v_xor_b32_e32 v0, v35, v3
	v_xor_b32_e32 v0, v0, v14
	s_load_dwordx2 s[46:47], s[4:5], 0xf4
	s_load_dwordx4 s[28:31], s[4:5], 0x138
	v_mad_u64_u32 v[0:1], s[0:1], v0, s61, 0
	s_mov_b32 s0, 0xf1bbcdc8
	v_add_u32_e32 v17, 0x8ff34781, v10
	v_xor_b32_e32 v0, v41, v0
	v_add_co_u32_e32 v36, vcc, s0, v10
	v_xor_b32_e32 v4, v17, v0
	v_xor_b32_e32 v0, v36, v1
	;; [unrolled: 1-line block ×3, first 2 shown]
	s_waitcnt lgkmcnt(0)
	v_cvt_f32_f64_e32 v2, s[30:31]
	v_mad_u64_u32 v[0:1], s[0:1], v0, s60, 0
	v_sub_f32_e32 v3, 1.0, v2
	v_add_u32_e32 v18, 0x96a522ad, v11
	v_xor_b32_e32 v1, v1, v38
	v_mov_b32_e32 v7, v0
	v_add_f32_e32 v0, -1.0, v3
	v_xor_b32_e32 v6, v18, v1
	v_sub_f32_e32 v1, v0, v3
	v_add_f32_e32 v1, 1.0, v1
	v_sub_f32_e64 v0, -v2, v0
	v_add_f32_e32 v8, v0, v1
	v_frexp_mant_f32_e32 v9, v3
	s_mov_b32 s2, 0x3f2aaaab
	v_cvt_f64_f32_e32 v[0:1], v3
	v_frexp_exp_i32_f64_e32 v0, v[0:1]
	v_cmp_gt_f32_e32 vcc, s2, v9
	v_subbrev_co_u32_e32 v0, vcc, 0, v0, vcc
	v_sub_u32_e32 v1, 0, v0
	v_ldexp_f32 v3, v3, v1
	v_ldexp_f32 v1, v8, v1
	v_add_f32_e32 v8, -1.0, v3
	v_add_f32_e32 v15, 1.0, v3
	v_add_f32_e32 v9, 1.0, v8
	v_add_f32_e32 v37, -1.0, v15
	v_sub_f32_e32 v9, v3, v9
	v_sub_f32_e32 v3, v3, v37
	v_add_f32_e32 v9, v1, v9
	v_add_f32_e32 v1, v1, v3
	;; [unrolled: 1-line block ×3, first 2 shown]
	v_rcp_f32_e32 v37, v3
	v_add_f32_e32 v14, v8, v9
	v_sub_f32_e32 v8, v14, v8
	v_sub_f32_e32 v8, v9, v8
	;; [unrolled: 1-line block ×4, first 2 shown]
	v_mul_f32_e32 v9, v14, v37
	v_mul_f32_e32 v15, v3, v9
	v_fma_f32 v38, v9, v3, -v15
	v_fmac_f32_e32 v38, v9, v1
	v_add_f32_e32 v39, v15, v38
	v_mov_b32_e32 v5, v40
	v_sub_f32_e32 v40, v14, v39
	v_sub_f32_e32 v14, v14, v40
	;; [unrolled: 1-line block ×4, first 2 shown]
	v_add_f32_e32 v8, v8, v14
	v_sub_f32_e32 v14, v15, v38
	v_add_f32_e32 v8, v14, v8
	v_add_f32_e32 v14, v40, v8
	v_mul_f32_e32 v15, v37, v14
	v_mul_f32_e32 v38, v3, v15
	v_fma_f32 v3, v15, v3, -v38
	v_fmac_f32_e32 v3, v15, v1
	v_sub_f32_e32 v1, v40, v14
	v_add_f32_e32 v1, v8, v1
	v_add_f32_e32 v8, v38, v3
	v_sub_f32_e32 v39, v14, v8
	v_sub_f32_e32 v14, v14, v39
	;; [unrolled: 1-line block ×4, first 2 shown]
	v_add_f32_e32 v1, v1, v8
	v_sub_f32_e32 v3, v38, v3
	v_add_f32_e32 v1, v3, v1
	v_add_f32_e32 v3, v9, v15
	;; [unrolled: 1-line block ×3, first 2 shown]
	v_sub_f32_e32 v8, v3, v9
	v_mul_f32_e32 v1, v37, v1
	v_sub_f32_e32 v8, v15, v8
	v_add_f32_e32 v1, v8, v1
	v_cvt_f32_i32_e32 v0, v0
	v_add_f32_e32 v8, v3, v1
	v_mul_f32_e32 v9, v8, v8
	v_mov_b32_e32 v14, 0x3ecc95a3
	v_fmac_f32_e32 v14, 0x3e9b6dac, v9
	v_mov_b32_e32 v15, 0x3f2aaada
	v_fmac_f32_e32 v15, v9, v14
	s_mov_b32 s2, 0x3f317218
	v_mul_f32_e32 v14, 0x3f317218, v0
	v_fma_f32 v37, v0, s2, -v14
	v_fmac_f32_e32 v37, 0xb102e308, v0
	v_sub_f32_e32 v0, v8, v3
	v_sub_f32_e32 v0, v1, v0
	v_add_f32_e32 v1, v14, v37
	v_sub_f32_e32 v3, v1, v14
	v_ldexp_f32 v14, v8, 1
	v_mul_f32_e32 v8, v8, v9
	v_mul_f32_e32 v8, v8, v15
	v_add_f32_e32 v9, v14, v8
	v_sub_f32_e32 v14, v9, v14
	v_ldexp_f32 v0, v0, 1
	v_sub_f32_e32 v8, v8, v14
	v_add_f32_e32 v0, v0, v8
	v_add_f32_e32 v8, v9, v0
	v_sub_f32_e32 v9, v8, v9
	v_sub_f32_e32 v0, v0, v9
	v_add_f32_e32 v9, v1, v8
	v_sub_f32_e32 v14, v9, v1
	v_sub_f32_e32 v15, v9, v14
	v_sub_f32_e32 v3, v37, v3
	v_sub_f32_e32 v1, v1, v15
	v_sub_f32_e32 v8, v8, v14
	v_add_f32_e32 v1, v8, v1
	v_add_f32_e32 v8, v3, v0
	v_sub_f32_e32 v14, v8, v3
	v_sub_f32_e32 v15, v8, v14
	;; [unrolled: 1-line block ×4, first 2 shown]
	v_add_f32_e32 v1, v8, v1
	v_add_f32_e32 v0, v0, v3
	;; [unrolled: 1-line block ×3, first 2 shown]
	s_load_dwordx8 s[8:15], s[4:5], 0x30
	v_sub_f32_e32 v8, v3, v9
	v_sub_f32_e32 v1, v1, v8
	v_add_f32_e32 v0, v0, v1
	s_mov_b32 s2, 0xff800000
	v_add_f32_e32 v0, v3, v0
	v_cmp_eq_f32_e32 vcc, s2, v2
	s_add_u32 s34, s4, 48
	v_cndmask_b32_e64 v0, v0, -v2, vcc
	v_mov_b32_e32 v1, 0x7fc00000
	v_cmp_nlt_f32_e32 vcc, 1.0, v2
	s_addc_u32 s35, s5, 0
	s_waitcnt lgkmcnt(0)
	s_add_i32 s0, s8, -1
	v_cndmask_b32_e32 v0, v1, v0, vcc
	v_mov_b32_e32 v1, 0xff800000
	v_cmp_neq_f32_e32 vcc, 1.0, v2
	s_cmp_gt_u32 s0, 1
	v_cndmask_b32_e32 v0, v1, v0, vcc
	v_log_f32_e32 v1, s0
	s_cselect_b64 s[40:41], -1, 0
	s_cmp_lg_u32 s8, 0
	s_cselect_b64 s[42:43], -1, 0
	s_add_u32 s44, s4, 0xf4
	s_mov_b32 s2, 0x33800000
	s_addc_u32 s45, s5, 0
	s_min_u32 s1, s0, 15
	v_cmp_lt_f32_e64 s[2:3], |v2|, s2
	s_cmp_gt_u32 s8, 1
	v_cndmask_b32_e64 v37, v0, -v2, s[2:3]
	s_mov_b32 s8, 0x3f317217
	v_mul_f32_e32 v0, 0x3f317217, v1
	v_fma_f32 v2, v1, s8, -v0
	v_fmac_f32_e32 v2, 0x3377d1cf, v1
	s_mov_b32 s15, 0x7f800000
	v_add_f32_e32 v0, v0, v2
	v_cmp_lt_f32_e64 vcc, |v1|, s15
	v_cndmask_b32_e32 v0, v1, v0, vcc
	v_div_scale_f32 v1, s[2:3], v37, v37, v0
	v_rcp_f32_e32 v2, v1
	s_cselect_b64 s[48:49], -1, 0
	s_add_i32 s1, s1, 1
	s_lshl_b32 s62, s33, 1
	v_fma_f32 v3, -v1, v2, 1.0
	v_fmac_f32_e32 v2, v3, v2
	v_div_scale_f32 v3, vcc, v0, v37, v0
	v_mul_f32_e32 v8, v3, v2
	v_fma_f32 v9, -v1, v8, v3
	v_fmac_f32_e32 v8, v9, v2
	v_fma_f32 v1, -v1, v8, v3
	v_div_fmas_f32 v1, v1, v2, v8
	v_div_fixup_f32 v0, v1, v37, v0
	v_ceil_f32_e32 v0, v0
	s_and_b32 s66, s1, 3
	v_cvt_i32_f32_e32 v38, v0
	s_cmp_lg_u32 s0, 2
	s_cselect_b64 s[30:31], -1, 0
	s_and_b32 s67, s1, 28
	s_mov_b32 s59, 0
	s_cmp_lg_u32 s66, 0
	s_mov_b32 s63, s59
	s_mul_i32 s64, s33, 3
	s_mov_b32 s65, s59
	s_mov_b64 s[50:51], 0
	s_cselect_b64 s[52:53], -1, 0
	s_mov_b32 s68, 0x800000
	v_mov_b32_e32 v39, 0x4f800000
	v_mov_b32_e32 v40, 0x41b17218
	;; [unrolled: 1-line block ×4, first 2 shown]
	s_branch .LBB9_9
.LBB9_7:                                ;   in Loop: Header=BB9_9 Depth=1
	global_store_dword v6, v38, s[28:29]
.LBB9_8:                                ;   in Loop: Header=BB9_9 Depth=1
	s_or_b64 exec, exec, s[36:37]
	v_add_co_u32_e32 v12, vcc, s58, v12
	v_mov_b32_e32 v3, v14
	v_addc_co_u32_e32 v13, vcc, 0, v13, vcc
	v_cmp_le_i64_e32 vcc, s[26:27], v[12:13]
	v_pk_mov_b32 v[6:7], v[2:3], v[2:3] op_sel:[0,1]
	s_or_b64 s[50:51], vcc, s[50:51]
	v_pk_mov_b32 v[4:5], v[0:1], v[0:1] op_sel:[0,1]
	s_barrier
	s_andn2_b64 exec, exec, s[50:51]
	s_cbranch_execz .LBB9_82
.LBB9_9:                                ; =>This Loop Header: Depth=1
                                        ;     Child Loop BB9_24 Depth 2
                                        ;     Child Loop BB9_30 Depth 2
                                        ;     Child Loop BB9_40 Depth 2
                                        ;     Child Loop BB9_46 Depth 2
                                        ;     Child Loop BB9_56 Depth 2
                                        ;     Child Loop BB9_62 Depth 2
                                        ;     Child Loop BB9_72 Depth 2
                                        ;     Child Loop BB9_78 Depth 2
	v_add_co_u32_e32 v27, vcc, 1, v27
	v_cndmask_b32_e64 v0, 0, 1, vcc
	v_addc_co_u32_e32 v28, vcc, 0, v28, vcc
	v_cmp_eq_u32_e32 vcc, 0, v28
	v_cndmask_b32_e32 v0, 0, v0, vcc
	v_add_u32_e32 v41, v0, v41
	v_cmp_eq_u32_e32 vcc, 0, v41
	v_cndmask_b32_e32 v0, 0, v0, vcc
	v_add_u32_e32 v42, v0, v42
	v_mad_u64_u32 v[0:1], s[0:1], v27, s60, 0
	v_mad_u64_u32 v[2:3], s[0:1], v41, s61, 0
	v_xor_b32_e32 v1, v1, v11
	v_xor_b32_e32 v3, v3, v10
	v_xor_b32_e32 v1, v42, v1
	v_xor_b32_e32 v3, v28, v3
	v_mad_u64_u32 v[14:15], s[0:1], v1, s61, 0
	v_mad_u64_u32 v[8:9], s[0:1], v3, s60, 0
	v_xor_b32_e32 v1, v26, v15
	v_xor_b32_e32 v1, v1, v2
	v_xor_b32_e32 v2, v29, v9
	v_xor_b32_e32 v2, v2, v0
	v_mad_u64_u32 v[0:1], s[0:1], v1, s60, 0
	v_mad_u64_u32 v[2:3], s[0:1], v2, s61, 0
	v_xor_b32_e32 v1, v25, v1
	v_xor_b32_e32 v3, v30, v3
	v_xor_b32_e32 v1, v1, v8
	v_xor_b32_e32 v3, v3, v14
	v_mad_u64_u32 v[14:15], s[0:1], v1, s61, 0
	v_mad_u64_u32 v[8:9], s[0:1], v3, s60, 0
	v_xor_b32_e32 v1, v24, v15
	v_xor_b32_e32 v1, v1, v2
	v_xor_b32_e32 v2, v31, v9
	v_xor_b32_e32 v2, v2, v0
	v_mad_u64_u32 v[0:1], s[0:1], v1, s60, 0
	v_mad_u64_u32 v[2:3], s[0:1], v2, s61, 0
	v_xor_b32_e32 v1, v23, v1
	v_xor_b32_e32 v3, v32, v3
	v_xor_b32_e32 v1, v1, v8
	v_xor_b32_e32 v3, v3, v14
	v_mad_u64_u32 v[14:15], s[0:1], v1, s61, 0
	v_mad_u64_u32 v[8:9], s[0:1], v3, s60, 0
	v_xor_b32_e32 v1, v22, v15
	v_xor_b32_e32 v1, v1, v2
	v_xor_b32_e32 v2, v33, v9
	v_xor_b32_e32 v2, v2, v0
	v_mad_u64_u32 v[0:1], s[0:1], v1, s60, 0
	v_mad_u64_u32 v[2:3], s[0:1], v2, s61, 0
	v_xor_b32_e32 v1, v21, v1
	v_xor_b32_e32 v3, v34, v3
	v_xor_b32_e32 v1, v1, v8
	v_xor_b32_e32 v3, v3, v14
	v_mad_u64_u32 v[14:15], s[0:1], v1, s61, 0
	v_mad_u64_u32 v[8:9], s[0:1], v3, s60, 0
	v_xor_b32_e32 v1, v20, v15
	v_xor_b32_e32 v1, v1, v2
	v_xor_b32_e32 v2, v35, v9
	v_xor_b32_e32 v0, v2, v0
	v_mad_u64_u32 v[2:3], s[0:1], v1, s60, 0
	v_mad_u64_u32 v[0:1], s[0:1], v0, s61, 0
	v_xor_b32_e32 v1, v36, v1
	v_xor_b32_e32 v1, v1, v14
	v_xor_b32_e32 v3, v19, v3
	v_xor_b32_e32 v3, v3, v8
	v_mad_u64_u32 v[14:15], s[0:1], v1, s60, 0
	v_mad_u64_u32 v[8:9], s[0:1], v3, s61, 0
	v_xor_b32_e32 v1, v15, v2
	v_xor_b32_e32 v0, v9, v0
	v_xor_b32_e32 v9, v18, v1
	v_xor_b32_e32 v0, v17, v0
	v_mov_b32_e32 v1, v8
	v_mov_b32_e32 v2, v9
	v_cmp_lt_i32_e32 vcc, 1, v16
	s_and_saveexec_b64 s[0:1], vcc
	s_xor_b64 s[0:1], exec, s[0:1]
	s_cbranch_execz .LBB9_15
; %bb.10:                               ;   in Loop: Header=BB9_9 Depth=1
	v_cmp_lt_i32_e32 vcc, 2, v16
	s_and_saveexec_b64 s[2:3], vcc
	s_xor_b64 s[2:3], exec, s[2:3]
; %bb.11:                               ;   in Loop: Header=BB9_9 Depth=1
	v_mov_b32_e32 v6, v7
	v_mov_b32_e32 v7, v0
	v_pk_mov_b32 v[4:5], v[6:7], v[6:7] op_sel:[0,1]
	v_pk_mov_b32 v[6:7], v[8:9], v[8:9] op_sel:[0,1]
                                        ; implicit-def: $vgpr8_vgpr9
; %bb.12:                               ;   in Loop: Header=BB9_9 Depth=1
	s_andn2_saveexec_b64 s[2:3], s[2:3]
; %bb.13:                               ;   in Loop: Header=BB9_9 Depth=1
	v_mov_b32_e32 v4, v6
	v_mov_b32_e32 v5, v7
	;; [unrolled: 1-line block ×4, first 2 shown]
; %bb.14:                               ;   in Loop: Header=BB9_9 Depth=1
	s_or_b64 exec, exec, s[2:3]
.LBB9_15:                               ;   in Loop: Header=BB9_9 Depth=1
	s_andn2_saveexec_b64 s[0:1], s[0:1]
	s_cbranch_execz .LBB9_19
; %bb.16:                               ;   in Loop: Header=BB9_9 Depth=1
	v_cmp_eq_u32_e32 vcc, 1, v16
	s_and_saveexec_b64 s[2:3], vcc
; %bb.17:                               ;   in Loop: Header=BB9_9 Depth=1
	v_mov_b32_e32 v4, v5
	v_mov_b32_e32 v5, v6
	;; [unrolled: 1-line block ×4, first 2 shown]
; %bb.18:                               ;   in Loop: Header=BB9_9 Depth=1
	s_or_b64 exec, exec, s[2:3]
.LBB9_19:                               ;   in Loop: Header=BB9_9 Depth=1
	s_or_b64 exec, exec, s[0:1]
	v_cndmask_b32_e64 v3, 0, 1, s[40:41]
	v_cmp_gt_i64_e32 vcc, s[24:25], v[12:13]
	v_cmp_ne_u32_e64 s[0:1], 1, v3
	s_and_saveexec_b64 s[54:55], vcc
	s_cbranch_execz .LBB9_35
; %bb.20:                               ;   in Loop: Header=BB9_9 Depth=1
	s_and_b64 vcc, exec, s[0:1]
	s_cbranch_vccnz .LBB9_26
; %bb.21:                               ;   in Loop: Header=BB9_9 Depth=1
	s_andn2_b64 vcc, exec, s[42:43]
	s_cbranch_vccnz .LBB9_27
; %bb.22:                               ;   in Loop: Header=BB9_9 Depth=1
	s_mov_b32 s4, 0
	s_andn2_b64 vcc, exec, s[30:31]
	v_mov_b32_e32 v8, 0
	s_cbranch_vccnz .LBB9_28
; %bb.23:                               ;   in Loop: Header=BB9_9 Depth=1
	s_mov_b32 s69, 0
	v_mov_b32_e32 v8, 0
	s_mov_b64 s[2:3], s[34:35]
	s_mov_b64 s[56:57], s[44:45]
	v_mov_b32_e32 v3, v12
.LBB9_24:                               ;   Parent Loop BB9_9 Depth=1
                                        ; =>  This Inner Loop Header: Depth=2
	s_load_dwordx8 s[16:23], s[2:3], 0x4
	s_load_dwordx4 s[4:7], s[2:3], 0x24
	s_load_dwordx4 s[36:39], s[56:57], 0x0
	s_add_u32 s2, s2, 48
	s_addc_u32 s3, s3, 0
	s_waitcnt lgkmcnt(0)
	v_mul_hi_u32 v9, s17, v3
	v_add_u32_e32 v9, v3, v9
	v_lshrrev_b32_e32 v9, s18, v9
	v_mul_lo_u32 v15, v9, s16
	v_mul_hi_u32 v43, s20, v9
	v_sub_u32_e32 v3, v3, v15
	v_add_u32_e32 v15, v9, v43
	v_lshrrev_b32_e32 v15, s21, v15
	v_mul_lo_u32 v43, v15, s19
	v_mul_hi_u32 v44, s23, v15
	v_sub_u32_e32 v9, v9, v43
	v_add_u32_e32 v43, v15, v44
	v_mul_lo_u32 v3, v3, s36
	v_mul_lo_u32 v9, v9, s37
	v_lshrrev_b32_e32 v43, s4, v43
	v_add3_u32 v8, v3, v8, v9
	v_mul_lo_u32 v3, v43, s22
	v_mul_hi_u32 v9, s6, v43
	v_sub_u32_e32 v3, v15, v3
	v_add_u32_e32 v9, v43, v9
	v_mul_lo_u32 v15, v3, s38
	v_lshrrev_b32_e32 v3, s7, v9
	s_add_i32 s69, s69, 4
	v_mul_lo_u32 v9, v3, s5
	s_add_u32 s56, s56, 16
	v_sub_u32_e32 v9, v43, v9
	s_addc_u32 s57, s57, 0
	v_mul_lo_u32 v9, v9, s39
	s_cmp_lg_u32 s67, s69
	v_add3_u32 v8, v15, v8, v9
	s_cbranch_scc1 .LBB9_24
; %bb.25:                               ;   in Loop: Header=BB9_9 Depth=1
	s_mov_b32 s4, s67
	s_andn2_b64 vcc, exec, s[52:53]
	s_cbranch_vccz .LBB9_29
	s_branch .LBB9_31
.LBB9_26:                               ;   in Loop: Header=BB9_9 Depth=1
                                        ; implicit-def: $vgpr8
	s_branch .LBB9_32
.LBB9_27:                               ;   in Loop: Header=BB9_9 Depth=1
	v_mov_b32_e32 v8, 0
	s_branch .LBB9_31
.LBB9_28:                               ;   in Loop: Header=BB9_9 Depth=1
	v_mov_b32_e32 v3, v12
	s_andn2_b64 vcc, exec, s[52:53]
	s_cbranch_vccnz .LBB9_31
.LBB9_29:                               ;   in Loop: Header=BB9_9 Depth=1
	s_lshl_b32 s2, s4, 2
	s_add_u32 s2, s44, s2
	s_addc_u32 s3, s45, 0
	s_mul_i32 s4, s4, 12
	s_add_u32 s4, s34, s4
	s_addc_u32 s5, s35, 0
	s_mov_b32 s6, s66
.LBB9_30:                               ;   Parent Loop BB9_9 Depth=1
                                        ; =>  This Inner Loop Header: Depth=2
	s_load_dwordx2 s[16:17], s[4:5], 0x4
	s_load_dword s7, s[4:5], 0xc
	s_load_dword s18, s[2:3], 0x0
	s_add_u32 s4, s4, 12
	s_addc_u32 s5, s5, 0
	s_waitcnt lgkmcnt(0)
	v_mul_hi_u32 v9, s17, v3
	v_add_u32_e32 v9, v3, v9
	v_lshrrev_b32_e32 v9, s7, v9
	s_add_u32 s2, s2, 4
	v_mul_lo_u32 v15, v9, s16
	s_addc_u32 s3, s3, 0
	s_add_i32 s6, s6, -1
	v_sub_u32_e32 v15, v3, v15
	s_cmp_lg_u32 s6, 0
	v_mov_b32_e32 v3, v9
	v_mad_u64_u32 v[8:9], s[16:17], v15, s18, v[8:9]
	s_cbranch_scc1 .LBB9_30
.LBB9_31:                               ;   in Loop: Header=BB9_9 Depth=1
	s_cbranch_execnz .LBB9_34
.LBB9_32:                               ;   in Loop: Header=BB9_9 Depth=1
	v_mul_hi_u32 v3, v12, s10
	v_add_u32_e32 v3, v3, v12
	v_lshrrev_b32_e32 v3, s11, v3
	v_mul_lo_u32 v8, v3, s9
	v_sub_u32_e32 v8, v12, v8
	s_andn2_b64 vcc, exec, s[48:49]
	v_mul_lo_u32 v8, v8, s46
	s_cbranch_vccnz .LBB9_34
; %bb.33:                               ;   in Loop: Header=BB9_9 Depth=1
	v_mul_hi_u32 v9, s13, v3
	v_add_u32_e32 v9, v3, v9
	v_lshrrev_b32_e32 v9, s14, v9
	v_mul_lo_u32 v9, v9, s12
	v_sub_u32_e32 v3, v3, v9
	v_mad_u64_u32 v[8:9], s[2:3], v3, s47, v[8:9]
.LBB9_34:                               ;   in Loop: Header=BB9_9 Depth=1
	v_lshrrev_b32_e32 v3, 11, v5
	v_cvt_f64_u32_e32 v[44:45], v3
	v_ldexp_f64 v[44:45], v[44:45], 32
	v_cvt_f64_u32_e32 v[4:5], v4
	v_add_f64 v[4:5], v[44:45], v[4:5]
	v_mov_b32_e32 v44, 0
	v_mov_b32_e32 v45, 0x3ca00000
	v_fmac_f64_e32 v[44:45], 0x3ca00000, v[4:5]
	v_cvt_f32_f64_e32 v3, v[44:45]
	v_cmp_gt_f32_e32 vcc, s68, v3
	v_cndmask_b32_e32 v4, 1.0, v39, vcc
	v_mul_f32_e32 v3, v3, v4
	v_log_f32_e32 v3, v3
	v_mul_f32_e32 v4, 0x3f317217, v3
	v_fma_f32 v5, v3, s8, -v4
	v_fmac_f32_e32 v5, 0x3377d1cf, v3
	v_add_f32_e32 v4, v4, v5
	v_cmp_lt_f32_e64 s[2:3], |v3|, s15
	v_cndmask_b32_e64 v3, v3, v4, s[2:3]
	v_cndmask_b32_e32 v4, 0, v40, vcc
	v_sub_f32_e32 v3, v3, v4
	v_div_scale_f32 v4, s[2:3], v37, v37, v3
	v_rcp_f32_e32 v5, v4
	v_fma_f32 v9, -v4, v5, 1.0
	v_fmac_f32_e32 v5, v9, v5
	v_div_scale_f32 v9, vcc, v3, v37, v3
	v_mul_f32_e32 v15, v9, v5
	v_fma_f32 v43, -v4, v15, v9
	v_fmac_f32_e32 v15, v43, v5
	v_fma_f32 v4, -v4, v15, v9
	v_div_fmas_f32 v4, v4, v5, v15
	v_div_fixup_f32 v3, v4, v37, v3
	v_ceil_f32_e32 v3, v3
	v_cvt_i32_f32_e32 v3, v3
	global_store_dword v8, v3, s[28:29]
.LBB9_35:                               ;   in Loop: Header=BB9_9 Depth=1
	s_or_b64 exec, exec, s[54:55]
	v_mov_b32_e32 v3, s59
	v_add_co_u32_e32 v8, vcc, s33, v12
	v_addc_co_u32_e32 v9, vcc, v13, v3, vcc
	v_cmp_gt_i64_e32 vcc, s[24:25], v[8:9]
	s_and_saveexec_b64 s[54:55], vcc
	s_cbranch_execz .LBB9_51
; %bb.36:                               ;   in Loop: Header=BB9_9 Depth=1
	s_and_b64 vcc, exec, s[0:1]
	s_cbranch_vccnz .LBB9_42
; %bb.37:                               ;   in Loop: Header=BB9_9 Depth=1
	s_andn2_b64 vcc, exec, s[42:43]
	s_cbranch_vccnz .LBB9_43
; %bb.38:                               ;   in Loop: Header=BB9_9 Depth=1
	s_mov_b32 s4, 0
	s_andn2_b64 vcc, exec, s[30:31]
	v_mov_b32_e32 v4, 0
	s_cbranch_vccnz .LBB9_44
; %bb.39:                               ;   in Loop: Header=BB9_9 Depth=1
	s_mov_b32 s69, 0
	v_mov_b32_e32 v4, 0
	s_mov_b64 s[2:3], s[34:35]
	s_mov_b64 s[56:57], s[44:45]
	v_mov_b32_e32 v3, v8
.LBB9_40:                               ;   Parent Loop BB9_9 Depth=1
                                        ; =>  This Inner Loop Header: Depth=2
	s_load_dwordx8 s[16:23], s[2:3], 0x4
	s_load_dwordx4 s[4:7], s[2:3], 0x24
	s_load_dwordx4 s[36:39], s[56:57], 0x0
	s_add_u32 s2, s2, 48
	s_addc_u32 s3, s3, 0
	s_waitcnt lgkmcnt(0)
	v_mul_hi_u32 v5, s17, v3
	v_add_u32_e32 v5, v3, v5
	v_lshrrev_b32_e32 v5, s18, v5
	v_mul_lo_u32 v9, v5, s16
	v_mul_hi_u32 v15, s20, v5
	v_sub_u32_e32 v3, v3, v9
	v_add_u32_e32 v9, v5, v15
	v_lshrrev_b32_e32 v9, s21, v9
	v_mul_lo_u32 v15, v9, s19
	v_mul_hi_u32 v43, s23, v9
	v_sub_u32_e32 v5, v5, v15
	v_add_u32_e32 v15, v9, v43
	v_mul_lo_u32 v3, v3, s36
	v_mul_lo_u32 v5, v5, s37
	v_lshrrev_b32_e32 v15, s4, v15
	v_add3_u32 v4, v3, v4, v5
	v_mul_lo_u32 v3, v15, s22
	v_mul_hi_u32 v5, s6, v15
	v_sub_u32_e32 v3, v9, v3
	v_add_u32_e32 v5, v15, v5
	v_mul_lo_u32 v9, v3, s38
	v_lshrrev_b32_e32 v3, s7, v5
	s_add_i32 s69, s69, 4
	v_mul_lo_u32 v5, v3, s5
	s_add_u32 s56, s56, 16
	v_sub_u32_e32 v5, v15, v5
	s_addc_u32 s57, s57, 0
	v_mul_lo_u32 v5, v5, s39
	s_cmp_eq_u32 s67, s69
	v_add3_u32 v4, v9, v4, v5
	s_cbranch_scc0 .LBB9_40
; %bb.41:                               ;   in Loop: Header=BB9_9 Depth=1
	s_mov_b32 s4, s67
	s_andn2_b64 vcc, exec, s[52:53]
	s_cbranch_vccz .LBB9_45
	s_branch .LBB9_47
.LBB9_42:                               ;   in Loop: Header=BB9_9 Depth=1
                                        ; implicit-def: $vgpr4
	s_branch .LBB9_48
.LBB9_43:                               ;   in Loop: Header=BB9_9 Depth=1
	v_mov_b32_e32 v4, 0
	s_branch .LBB9_47
.LBB9_44:                               ;   in Loop: Header=BB9_9 Depth=1
	v_mov_b32_e32 v3, v8
	s_andn2_b64 vcc, exec, s[52:53]
	s_cbranch_vccnz .LBB9_47
.LBB9_45:                               ;   in Loop: Header=BB9_9 Depth=1
	s_lshl_b32 s2, s4, 2
	s_add_u32 s2, s44, s2
	s_addc_u32 s3, s45, 0
	s_mul_i32 s4, s4, 12
	s_add_u32 s4, s34, s4
	s_addc_u32 s5, s35, 0
	s_mov_b32 s6, s66
.LBB9_46:                               ;   Parent Loop BB9_9 Depth=1
                                        ; =>  This Inner Loop Header: Depth=2
	s_load_dwordx2 s[16:17], s[4:5], 0x4
	s_load_dword s7, s[4:5], 0xc
	s_load_dword s18, s[2:3], 0x0
	s_add_u32 s4, s4, 12
	s_addc_u32 s5, s5, 0
	s_waitcnt lgkmcnt(0)
	v_mul_hi_u32 v5, s17, v3
	v_add_u32_e32 v5, v3, v5
	v_lshrrev_b32_e32 v5, s7, v5
	s_add_u32 s2, s2, 4
	v_mul_lo_u32 v9, v5, s16
	s_addc_u32 s3, s3, 0
	s_add_i32 s6, s6, -1
	v_sub_u32_e32 v9, v3, v9
	s_cmp_lg_u32 s6, 0
	v_mov_b32_e32 v3, v5
	v_mad_u64_u32 v[4:5], s[16:17], v9, s18, v[4:5]
	s_cbranch_scc1 .LBB9_46
.LBB9_47:                               ;   in Loop: Header=BB9_9 Depth=1
	s_cbranch_execnz .LBB9_50
.LBB9_48:                               ;   in Loop: Header=BB9_9 Depth=1
	v_mul_hi_u32 v3, v8, s10
	v_add_u32_e32 v3, v3, v8
	v_lshrrev_b32_e32 v3, s11, v3
	v_mul_lo_u32 v4, v3, s9
	v_sub_u32_e32 v4, v8, v4
	s_andn2_b64 vcc, exec, s[48:49]
	v_mul_lo_u32 v4, v4, s46
	s_cbranch_vccnz .LBB9_50
; %bb.49:                               ;   in Loop: Header=BB9_9 Depth=1
	v_mul_hi_u32 v5, s13, v3
	v_add_u32_e32 v5, v3, v5
	v_lshrrev_b32_e32 v5, s14, v5
	v_mul_lo_u32 v5, v5, s12
	v_sub_u32_e32 v3, v3, v5
	v_mad_u64_u32 v[4:5], s[2:3], v3, s47, v[4:5]
.LBB9_50:                               ;   in Loop: Header=BB9_9 Depth=1
	v_lshrrev_b32_e32 v3, 11, v7
	v_cvt_f64_u32_e32 v[8:9], v3
	v_ldexp_f64 v[8:9], v[8:9], 32
	v_cvt_f64_u32_e32 v[6:7], v6
	v_add_f64 v[6:7], v[8:9], v[6:7]
	v_mov_b32_e32 v8, 0
	v_mov_b32_e32 v9, 0x3ca00000
	v_fmac_f64_e32 v[8:9], 0x3ca00000, v[6:7]
	v_cvt_f32_f64_e32 v3, v[8:9]
	v_cmp_gt_f32_e32 vcc, s68, v3
	v_cndmask_b32_e32 v5, 1.0, v39, vcc
	v_mul_f32_e32 v3, v3, v5
	v_log_f32_e32 v3, v3
	v_mul_f32_e32 v5, 0x3f317217, v3
	v_fma_f32 v6, v3, s8, -v5
	v_fmac_f32_e32 v6, 0x3377d1cf, v3
	v_add_f32_e32 v5, v5, v6
	v_cmp_lt_f32_e64 s[2:3], |v3|, s15
	v_cndmask_b32_e64 v3, v3, v5, s[2:3]
	v_cndmask_b32_e32 v5, 0, v40, vcc
	v_sub_f32_e32 v3, v3, v5
	v_div_scale_f32 v5, s[2:3], v37, v37, v3
	v_rcp_f32_e32 v6, v5
	v_fma_f32 v7, -v5, v6, 1.0
	v_fmac_f32_e32 v6, v7, v6
	v_div_scale_f32 v7, vcc, v3, v37, v3
	v_mul_f32_e32 v8, v7, v6
	v_fma_f32 v9, -v5, v8, v7
	v_fmac_f32_e32 v8, v9, v6
	v_fma_f32 v5, -v5, v8, v7
	v_div_fmas_f32 v5, v5, v6, v8
	v_div_fixup_f32 v3, v5, v37, v3
	v_ceil_f32_e32 v3, v3
	v_cvt_i32_f32_e32 v3, v3
	global_store_dword v4, v3, s[28:29]
.LBB9_51:                               ;   in Loop: Header=BB9_9 Depth=1
	s_or_b64 exec, exec, s[54:55]
	v_mov_b32_e32 v3, s63
	v_add_co_u32_e32 v4, vcc, s62, v12
	v_addc_co_u32_e32 v5, vcc, v13, v3, vcc
	v_cmp_gt_i64_e32 vcc, s[24:25], v[4:5]
	s_and_saveexec_b64 s[2:3], vcc
	s_cbranch_execz .LBB9_67
; %bb.52:                               ;   in Loop: Header=BB9_9 Depth=1
	s_and_b64 vcc, exec, s[0:1]
	s_cbranch_vccnz .LBB9_58
; %bb.53:                               ;   in Loop: Header=BB9_9 Depth=1
	s_andn2_b64 vcc, exec, s[42:43]
	s_cbranch_vccnz .LBB9_59
; %bb.54:                               ;   in Loop: Header=BB9_9 Depth=1
	s_mov_b32 s6, 0
	s_andn2_b64 vcc, exec, s[30:31]
	v_mov_b32_e32 v6, 0
	s_cbranch_vccnz .LBB9_60
; %bb.55:                               ;   in Loop: Header=BB9_9 Depth=1
	s_mov_b32 s69, 0
	v_mov_b32_e32 v6, 0
	s_mov_b64 s[54:55], s[34:35]
	s_mov_b64 s[56:57], s[44:45]
	v_mov_b32_e32 v3, v4
.LBB9_56:                               ;   Parent Loop BB9_9 Depth=1
                                        ; =>  This Inner Loop Header: Depth=2
	s_load_dwordx8 s[16:23], s[54:55], 0x4
	s_load_dwordx4 s[4:7], s[54:55], 0x24
	s_load_dwordx4 s[36:39], s[56:57], 0x0
	s_add_u32 s54, s54, 48
	s_addc_u32 s55, s55, 0
	s_waitcnt lgkmcnt(0)
	v_mul_hi_u32 v5, s17, v3
	v_add_u32_e32 v5, v3, v5
	v_lshrrev_b32_e32 v5, s18, v5
	v_mul_lo_u32 v7, v5, s16
	v_mul_hi_u32 v8, s20, v5
	v_sub_u32_e32 v3, v3, v7
	v_add_u32_e32 v7, v5, v8
	v_lshrrev_b32_e32 v7, s21, v7
	v_mul_lo_u32 v8, v7, s19
	v_mul_hi_u32 v9, s23, v7
	v_sub_u32_e32 v5, v5, v8
	v_add_u32_e32 v8, v7, v9
	v_mul_lo_u32 v3, v3, s36
	v_mul_lo_u32 v5, v5, s37
	v_lshrrev_b32_e32 v8, s4, v8
	v_add3_u32 v5, v3, v6, v5
	v_mul_lo_u32 v3, v8, s22
	v_mul_hi_u32 v6, s6, v8
	v_sub_u32_e32 v3, v7, v3
	v_add_u32_e32 v6, v8, v6
	v_mul_lo_u32 v7, v3, s38
	v_lshrrev_b32_e32 v3, s7, v6
	s_add_i32 s69, s69, 4
	v_mul_lo_u32 v6, v3, s5
	s_add_u32 s56, s56, 16
	v_sub_u32_e32 v6, v8, v6
	s_addc_u32 s57, s57, 0
	v_mul_lo_u32 v6, v6, s39
	s_cmp_eq_u32 s67, s69
	v_add3_u32 v6, v7, v5, v6
	s_cbranch_scc0 .LBB9_56
; %bb.57:                               ;   in Loop: Header=BB9_9 Depth=1
	s_mov_b32 s6, s67
	s_andn2_b64 vcc, exec, s[52:53]
	s_cbranch_vccz .LBB9_61
	s_branch .LBB9_63
.LBB9_58:                               ;   in Loop: Header=BB9_9 Depth=1
                                        ; implicit-def: $vgpr6
	s_branch .LBB9_64
.LBB9_59:                               ;   in Loop: Header=BB9_9 Depth=1
	v_mov_b32_e32 v6, 0
	s_branch .LBB9_63
.LBB9_60:                               ;   in Loop: Header=BB9_9 Depth=1
	v_mov_b32_e32 v3, v4
	s_andn2_b64 vcc, exec, s[52:53]
	s_cbranch_vccnz .LBB9_63
.LBB9_61:                               ;   in Loop: Header=BB9_9 Depth=1
	s_lshl_b32 s4, s6, 2
	s_add_u32 s4, s44, s4
	s_addc_u32 s5, s45, 0
	s_mul_i32 s6, s6, 12
	s_add_u32 s6, s34, s6
	s_addc_u32 s7, s35, 0
	s_mov_b32 s16, s66
.LBB9_62:                               ;   Parent Loop BB9_9 Depth=1
                                        ; =>  This Inner Loop Header: Depth=2
	s_load_dwordx2 s[18:19], s[6:7], 0x4
	s_load_dword s17, s[6:7], 0xc
	s_load_dword s20, s[4:5], 0x0
	s_add_u32 s6, s6, 12
	s_addc_u32 s7, s7, 0
	s_waitcnt lgkmcnt(0)
	v_mul_hi_u32 v5, s19, v3
	v_add_u32_e32 v5, v3, v5
	v_lshrrev_b32_e32 v5, s17, v5
	s_add_u32 s4, s4, 4
	v_mul_lo_u32 v7, v5, s18
	s_addc_u32 s5, s5, 0
	s_add_i32 s16, s16, -1
	v_sub_u32_e32 v7, v3, v7
	s_cmp_lg_u32 s16, 0
	v_mov_b32_e32 v3, v5
	v_mad_u64_u32 v[6:7], s[18:19], v7, s20, v[6:7]
	s_cbranch_scc1 .LBB9_62
.LBB9_63:                               ;   in Loop: Header=BB9_9 Depth=1
	s_cbranch_execnz .LBB9_66
.LBB9_64:                               ;   in Loop: Header=BB9_9 Depth=1
	v_mul_hi_u32 v3, v4, s10
	v_add_u32_e32 v3, v3, v4
	v_lshrrev_b32_e32 v3, s11, v3
	v_mul_lo_u32 v5, v3, s9
	v_sub_u32_e32 v4, v4, v5
	s_andn2_b64 vcc, exec, s[48:49]
	v_mul_lo_u32 v6, v4, s46
	s_cbranch_vccnz .LBB9_66
; %bb.65:                               ;   in Loop: Header=BB9_9 Depth=1
	v_mul_hi_u32 v4, s13, v3
	v_add_u32_e32 v4, v3, v4
	v_lshrrev_b32_e32 v4, s14, v4
	v_mul_lo_u32 v4, v4, s12
	v_sub_u32_e32 v3, v3, v4
	v_mad_u64_u32 v[6:7], s[4:5], v3, s47, v[6:7]
.LBB9_66:                               ;   in Loop: Header=BB9_9 Depth=1
	global_store_dword v6, v38, s[28:29]
.LBB9_67:                               ;   in Loop: Header=BB9_9 Depth=1
	s_or_b64 exec, exec, s[2:3]
	v_mov_b32_e32 v3, s65
	v_add_co_u32_e32 v4, vcc, s64, v12
	v_addc_co_u32_e32 v5, vcc, v13, v3, vcc
	v_cmp_gt_i64_e32 vcc, s[24:25], v[4:5]
	s_and_saveexec_b64 s[36:37], vcc
	s_cbranch_execz .LBB9_8
; %bb.68:                               ;   in Loop: Header=BB9_9 Depth=1
	s_and_b64 vcc, exec, s[0:1]
	s_cbranch_vccnz .LBB9_74
; %bb.69:                               ;   in Loop: Header=BB9_9 Depth=1
	s_andn2_b64 vcc, exec, s[42:43]
	s_cbranch_vccnz .LBB9_75
; %bb.70:                               ;   in Loop: Header=BB9_9 Depth=1
	s_mov_b32 s2, 0
	s_andn2_b64 vcc, exec, s[30:31]
	v_mov_b32_e32 v6, 0
	s_cbranch_vccnz .LBB9_76
; %bb.71:                               ;   in Loop: Header=BB9_9 Depth=1
	s_mov_b32 s56, 0
	v_mov_b32_e32 v6, 0
	s_mov_b64 s[38:39], s[34:35]
	s_mov_b64 s[54:55], s[44:45]
	v_mov_b32_e32 v3, v4
.LBB9_72:                               ;   Parent Loop BB9_9 Depth=1
                                        ; =>  This Inner Loop Header: Depth=2
	s_load_dwordx8 s[0:7], s[38:39], 0x4
	s_load_dwordx4 s[16:19], s[38:39], 0x24
	s_load_dwordx4 s[20:23], s[54:55], 0x0
	s_add_u32 s38, s38, 48
	s_addc_u32 s39, s39, 0
	s_waitcnt lgkmcnt(0)
	v_mul_hi_u32 v5, s1, v3
	v_add_u32_e32 v5, v3, v5
	v_lshrrev_b32_e32 v5, s2, v5
	v_mul_lo_u32 v7, v5, s0
	v_mul_hi_u32 v8, s4, v5
	v_sub_u32_e32 v3, v3, v7
	v_add_u32_e32 v7, v5, v8
	v_lshrrev_b32_e32 v7, s5, v7
	v_mul_lo_u32 v8, v7, s3
	v_mul_hi_u32 v9, s7, v7
	v_sub_u32_e32 v5, v5, v8
	v_add_u32_e32 v8, v7, v9
	v_mul_lo_u32 v3, v3, s20
	v_mul_lo_u32 v5, v5, s21
	v_lshrrev_b32_e32 v8, s16, v8
	v_add3_u32 v5, v3, v6, v5
	v_mul_lo_u32 v3, v8, s6
	v_mul_hi_u32 v6, s18, v8
	v_sub_u32_e32 v3, v7, v3
	v_add_u32_e32 v6, v8, v6
	v_mul_lo_u32 v7, v3, s22
	v_lshrrev_b32_e32 v3, s19, v6
	s_add_i32 s56, s56, 4
	v_mul_lo_u32 v6, v3, s17
	s_add_u32 s54, s54, 16
	v_sub_u32_e32 v6, v8, v6
	s_addc_u32 s55, s55, 0
	v_mul_lo_u32 v6, v6, s23
	s_cmp_eq_u32 s67, s56
	v_add3_u32 v6, v7, v5, v6
	s_cbranch_scc0 .LBB9_72
; %bb.73:                               ;   in Loop: Header=BB9_9 Depth=1
	s_mov_b32 s2, s67
	s_andn2_b64 vcc, exec, s[52:53]
	s_cbranch_vccz .LBB9_77
	s_branch .LBB9_79
.LBB9_74:                               ;   in Loop: Header=BB9_9 Depth=1
                                        ; implicit-def: $vgpr6
	s_branch .LBB9_80
.LBB9_75:                               ;   in Loop: Header=BB9_9 Depth=1
	v_mov_b32_e32 v6, 0
	s_branch .LBB9_79
.LBB9_76:                               ;   in Loop: Header=BB9_9 Depth=1
	v_mov_b32_e32 v3, v4
	s_andn2_b64 vcc, exec, s[52:53]
	s_cbranch_vccnz .LBB9_79
.LBB9_77:                               ;   in Loop: Header=BB9_9 Depth=1
	s_lshl_b32 s0, s2, 2
	s_add_u32 s0, s44, s0
	s_addc_u32 s1, s45, 0
	s_mul_i32 s2, s2, 12
	s_add_u32 s2, s34, s2
	s_addc_u32 s3, s35, 0
	s_mov_b32 s4, s66
.LBB9_78:                               ;   Parent Loop BB9_9 Depth=1
                                        ; =>  This Inner Loop Header: Depth=2
	s_load_dwordx2 s[6:7], s[2:3], 0x4
	s_load_dword s5, s[2:3], 0xc
	s_load_dword s16, s[0:1], 0x0
	s_add_u32 s2, s2, 12
	s_addc_u32 s3, s3, 0
	s_waitcnt lgkmcnt(0)
	v_mul_hi_u32 v5, s7, v3
	v_add_u32_e32 v5, v3, v5
	v_lshrrev_b32_e32 v5, s5, v5
	s_add_u32 s0, s0, 4
	v_mul_lo_u32 v7, v5, s6
	s_addc_u32 s1, s1, 0
	s_add_i32 s4, s4, -1
	v_sub_u32_e32 v7, v3, v7
	s_cmp_lg_u32 s4, 0
	v_mov_b32_e32 v3, v5
	v_mad_u64_u32 v[6:7], s[6:7], v7, s16, v[6:7]
	s_cbranch_scc1 .LBB9_78
.LBB9_79:                               ;   in Loop: Header=BB9_9 Depth=1
	s_cbranch_execnz .LBB9_7
.LBB9_80:                               ;   in Loop: Header=BB9_9 Depth=1
	v_mul_hi_u32 v3, v4, s10
	v_add_u32_e32 v3, v3, v4
	v_lshrrev_b32_e32 v3, s11, v3
	v_mul_lo_u32 v5, v3, s9
	v_sub_u32_e32 v4, v4, v5
	s_andn2_b64 vcc, exec, s[48:49]
	v_mul_lo_u32 v6, v4, s46
	s_cbranch_vccnz .LBB9_7
; %bb.81:                               ;   in Loop: Header=BB9_9 Depth=1
	v_mul_hi_u32 v4, s13, v3
	v_add_u32_e32 v4, v3, v4
	v_lshrrev_b32_e32 v4, s14, v4
	v_mul_lo_u32 v4, v4, s12
	v_sub_u32_e32 v3, v3, v4
	v_mad_u64_u32 v[6:7], s[0:1], v3, s47, v[6:7]
	s_branch .LBB9_7
.LBB9_82:
	s_endpgm
.LBB9_83:
                                        ; implicit-def: $sgpr2_sgpr3
	s_andn2_b64 vcc, exec, s[0:1]
	s_cbranch_vccz .LBB9_4
	s_branch .LBB9_5
	.section	.rodata,"a",@progbits
	.p2align	6, 0x0
	.amdhsa_kernel _ZN2at6native12_GLOBAL__N_143distribution_elementwise_grid_stride_kernelIfLi4EZNS0_9templates4cuda21uniform_and_transformIifPNS_17CUDAGeneratorImplEZZZNS4_16geometric_kernelIS7_EEvRNS_18TensorIteratorBaseEdT_ENKUlvE_clEvENKUlvE1_clEvEUlfE_EEvSA_T1_T2_EUlP25hiprandStatePhilox4_32_10E_ZNS1_27distribution_nullary_kernelIif15HIP_vector_typeIdLj2EES7_SJ_SE_EEvSA_SG_RKT3_T4_EUlifE0_EEvlNS_15PhiloxCudaStateESF_SG_
		.amdhsa_group_segment_fixed_size 0
		.amdhsa_private_segment_fixed_size 0
		.amdhsa_kernarg_size 584
		.amdhsa_user_sgpr_count 6
		.amdhsa_user_sgpr_private_segment_buffer 1
		.amdhsa_user_sgpr_dispatch_ptr 0
		.amdhsa_user_sgpr_queue_ptr 0
		.amdhsa_user_sgpr_kernarg_segment_ptr 1
		.amdhsa_user_sgpr_dispatch_id 0
		.amdhsa_user_sgpr_flat_scratch_init 0
		.amdhsa_user_sgpr_kernarg_preload_length 0
		.amdhsa_user_sgpr_kernarg_preload_offset 0
		.amdhsa_user_sgpr_private_segment_size 0
		.amdhsa_uses_dynamic_stack 0
		.amdhsa_system_sgpr_private_segment_wavefront_offset 0
		.amdhsa_system_sgpr_workgroup_id_x 1
		.amdhsa_system_sgpr_workgroup_id_y 0
		.amdhsa_system_sgpr_workgroup_id_z 0
		.amdhsa_system_sgpr_workgroup_info 0
		.amdhsa_system_vgpr_workitem_id 0
		.amdhsa_next_free_vgpr 46
		.amdhsa_next_free_sgpr 70
		.amdhsa_accum_offset 48
		.amdhsa_reserve_vcc 1
		.amdhsa_reserve_flat_scratch 0
		.amdhsa_float_round_mode_32 0
		.amdhsa_float_round_mode_16_64 0
		.amdhsa_float_denorm_mode_32 3
		.amdhsa_float_denorm_mode_16_64 3
		.amdhsa_dx10_clamp 1
		.amdhsa_ieee_mode 1
		.amdhsa_fp16_overflow 0
		.amdhsa_tg_split 0
		.amdhsa_exception_fp_ieee_invalid_op 0
		.amdhsa_exception_fp_denorm_src 0
		.amdhsa_exception_fp_ieee_div_zero 0
		.amdhsa_exception_fp_ieee_overflow 0
		.amdhsa_exception_fp_ieee_underflow 0
		.amdhsa_exception_fp_ieee_inexact 0
		.amdhsa_exception_int_div_zero 0
	.end_amdhsa_kernel
	.section	.text._ZN2at6native12_GLOBAL__N_143distribution_elementwise_grid_stride_kernelIfLi4EZNS0_9templates4cuda21uniform_and_transformIifPNS_17CUDAGeneratorImplEZZZNS4_16geometric_kernelIS7_EEvRNS_18TensorIteratorBaseEdT_ENKUlvE_clEvENKUlvE1_clEvEUlfE_EEvSA_T1_T2_EUlP25hiprandStatePhilox4_32_10E_ZNS1_27distribution_nullary_kernelIif15HIP_vector_typeIdLj2EES7_SJ_SE_EEvSA_SG_RKT3_T4_EUlifE0_EEvlNS_15PhiloxCudaStateESF_SG_,"axG",@progbits,_ZN2at6native12_GLOBAL__N_143distribution_elementwise_grid_stride_kernelIfLi4EZNS0_9templates4cuda21uniform_and_transformIifPNS_17CUDAGeneratorImplEZZZNS4_16geometric_kernelIS7_EEvRNS_18TensorIteratorBaseEdT_ENKUlvE_clEvENKUlvE1_clEvEUlfE_EEvSA_T1_T2_EUlP25hiprandStatePhilox4_32_10E_ZNS1_27distribution_nullary_kernelIif15HIP_vector_typeIdLj2EES7_SJ_SE_EEvSA_SG_RKT3_T4_EUlifE0_EEvlNS_15PhiloxCudaStateESF_SG_,comdat
.Lfunc_end9:
	.size	_ZN2at6native12_GLOBAL__N_143distribution_elementwise_grid_stride_kernelIfLi4EZNS0_9templates4cuda21uniform_and_transformIifPNS_17CUDAGeneratorImplEZZZNS4_16geometric_kernelIS7_EEvRNS_18TensorIteratorBaseEdT_ENKUlvE_clEvENKUlvE1_clEvEUlfE_EEvSA_T1_T2_EUlP25hiprandStatePhilox4_32_10E_ZNS1_27distribution_nullary_kernelIif15HIP_vector_typeIdLj2EES7_SJ_SE_EEvSA_SG_RKT3_T4_EUlifE0_EEvlNS_15PhiloxCudaStateESF_SG_, .Lfunc_end9-_ZN2at6native12_GLOBAL__N_143distribution_elementwise_grid_stride_kernelIfLi4EZNS0_9templates4cuda21uniform_and_transformIifPNS_17CUDAGeneratorImplEZZZNS4_16geometric_kernelIS7_EEvRNS_18TensorIteratorBaseEdT_ENKUlvE_clEvENKUlvE1_clEvEUlfE_EEvSA_T1_T2_EUlP25hiprandStatePhilox4_32_10E_ZNS1_27distribution_nullary_kernelIif15HIP_vector_typeIdLj2EES7_SJ_SE_EEvSA_SG_RKT3_T4_EUlifE0_EEvlNS_15PhiloxCudaStateESF_SG_
                                        ; -- End function
	.section	.AMDGPU.csdata,"",@progbits
; Kernel info:
; codeLenInByte = 5432
; NumSgprs: 74
; NumVgprs: 46
; NumAgprs: 0
; TotalNumVgprs: 46
; ScratchSize: 0
; MemoryBound: 0
; FloatMode: 240
; IeeeMode: 1
; LDSByteSize: 0 bytes/workgroup (compile time only)
; SGPRBlocks: 9
; VGPRBlocks: 5
; NumSGPRsForWavesPerEU: 74
; NumVGPRsForWavesPerEU: 46
; AccumOffset: 48
; Occupancy: 8
; WaveLimiterHint : 1
; COMPUTE_PGM_RSRC2:SCRATCH_EN: 0
; COMPUTE_PGM_RSRC2:USER_SGPR: 6
; COMPUTE_PGM_RSRC2:TRAP_HANDLER: 0
; COMPUTE_PGM_RSRC2:TGID_X_EN: 1
; COMPUTE_PGM_RSRC2:TGID_Y_EN: 0
; COMPUTE_PGM_RSRC2:TGID_Z_EN: 0
; COMPUTE_PGM_RSRC2:TIDIG_COMP_CNT: 0
; COMPUTE_PGM_RSRC3_GFX90A:ACCUM_OFFSET: 11
; COMPUTE_PGM_RSRC3_GFX90A:TG_SPLIT: 0
	.section	.text._ZN2at6native12_GLOBAL__N_143distribution_elementwise_grid_stride_kernelIfLi4EZNS0_9templates4cuda21uniform_and_transformIifPNS_17CUDAGeneratorImplEZZZNS4_16geometric_kernelIS7_EEvRNS_18TensorIteratorBaseEdT_ENKUlvE_clEvENKUlvE1_clEvEUlfE_EEvSA_T1_T2_EUlP25hiprandStatePhilox4_32_10E0_ZNS1_27distribution_nullary_kernelIif15HIP_vector_typeIfLj4EES7_SJ_SE_EEvSA_SG_RKT3_T4_EUlifE_EEvlNS_15PhiloxCudaStateESF_SG_,"axG",@progbits,_ZN2at6native12_GLOBAL__N_143distribution_elementwise_grid_stride_kernelIfLi4EZNS0_9templates4cuda21uniform_and_transformIifPNS_17CUDAGeneratorImplEZZZNS4_16geometric_kernelIS7_EEvRNS_18TensorIteratorBaseEdT_ENKUlvE_clEvENKUlvE1_clEvEUlfE_EEvSA_T1_T2_EUlP25hiprandStatePhilox4_32_10E0_ZNS1_27distribution_nullary_kernelIif15HIP_vector_typeIfLj4EES7_SJ_SE_EEvSA_SG_RKT3_T4_EUlifE_EEvlNS_15PhiloxCudaStateESF_SG_,comdat
	.globl	_ZN2at6native12_GLOBAL__N_143distribution_elementwise_grid_stride_kernelIfLi4EZNS0_9templates4cuda21uniform_and_transformIifPNS_17CUDAGeneratorImplEZZZNS4_16geometric_kernelIS7_EEvRNS_18TensorIteratorBaseEdT_ENKUlvE_clEvENKUlvE1_clEvEUlfE_EEvSA_T1_T2_EUlP25hiprandStatePhilox4_32_10E0_ZNS1_27distribution_nullary_kernelIif15HIP_vector_typeIfLj4EES7_SJ_SE_EEvSA_SG_RKT3_T4_EUlifE_EEvlNS_15PhiloxCudaStateESF_SG_ ; -- Begin function _ZN2at6native12_GLOBAL__N_143distribution_elementwise_grid_stride_kernelIfLi4EZNS0_9templates4cuda21uniform_and_transformIifPNS_17CUDAGeneratorImplEZZZNS4_16geometric_kernelIS7_EEvRNS_18TensorIteratorBaseEdT_ENKUlvE_clEvENKUlvE1_clEvEUlfE_EEvSA_T1_T2_EUlP25hiprandStatePhilox4_32_10E0_ZNS1_27distribution_nullary_kernelIif15HIP_vector_typeIfLj4EES7_SJ_SE_EEvSA_SG_RKT3_T4_EUlifE_EEvlNS_15PhiloxCudaStateESF_SG_
	.p2align	8
	.type	_ZN2at6native12_GLOBAL__N_143distribution_elementwise_grid_stride_kernelIfLi4EZNS0_9templates4cuda21uniform_and_transformIifPNS_17CUDAGeneratorImplEZZZNS4_16geometric_kernelIS7_EEvRNS_18TensorIteratorBaseEdT_ENKUlvE_clEvENKUlvE1_clEvEUlfE_EEvSA_T1_T2_EUlP25hiprandStatePhilox4_32_10E0_ZNS1_27distribution_nullary_kernelIif15HIP_vector_typeIfLj4EES7_SJ_SE_EEvSA_SG_RKT3_T4_EUlifE_EEvlNS_15PhiloxCudaStateESF_SG_,@function
_ZN2at6native12_GLOBAL__N_143distribution_elementwise_grid_stride_kernelIfLi4EZNS0_9templates4cuda21uniform_and_transformIifPNS_17CUDAGeneratorImplEZZZNS4_16geometric_kernelIS7_EEvRNS_18TensorIteratorBaseEdT_ENKUlvE_clEvENKUlvE1_clEvEUlfE_EEvSA_T1_T2_EUlP25hiprandStatePhilox4_32_10E0_ZNS1_27distribution_nullary_kernelIif15HIP_vector_typeIfLj4EES7_SJ_SE_EEvSA_SG_RKT3_T4_EUlifE_EEvlNS_15PhiloxCudaStateESF_SG_: ; @_ZN2at6native12_GLOBAL__N_143distribution_elementwise_grid_stride_kernelIfLi4EZNS0_9templates4cuda21uniform_and_transformIifPNS_17CUDAGeneratorImplEZZZNS4_16geometric_kernelIS7_EEvRNS_18TensorIteratorBaseEdT_ENKUlvE_clEvENKUlvE1_clEvEUlfE_EEvSA_T1_T2_EUlP25hiprandStatePhilox4_32_10E0_ZNS1_27distribution_nullary_kernelIif15HIP_vector_typeIfLj4EES7_SJ_SE_EEvSA_SG_RKT3_T4_EUlifE_EEvlNS_15PhiloxCudaStateESF_SG_
; %bb.0:
	s_load_dword s7, s[4:5], 0x20
	s_load_dwordx2 s[10:11], s[4:5], 0x10
	s_load_dwordx4 s[0:3], s[4:5], 0x0
	s_mov_b32 s8, 0
	s_waitcnt lgkmcnt(0)
	s_bitcmp0_b32 s7, 0
	v_pk_mov_b32 v[2:3], s[10:11], s[10:11] op_sel:[0,1]
	v_pk_mov_b32 v[14:15], s[2:3], s[2:3] op_sel:[0,1]
	s_cbranch_scc1 .LBB10_2
; %bb.1:
	v_pk_mov_b32 v[2:3], s[10:11], s[10:11] op_sel:[0,1]
	flat_load_dwordx2 v[2:3], v[2:3]
	v_pk_mov_b32 v[4:5], s[2:3], s[2:3] op_sel:[0,1]
	flat_load_dwordx2 v[14:15], v[4:5]
	s_load_dwordx2 s[2:3], s[4:5], 0x18
	s_waitcnt lgkmcnt(0)
	v_mov_b32_e32 v1, s3
	s_waitcnt vmcnt(0)
	v_add_co_u32_e32 v2, vcc, s2, v2
	v_addc_co_u32_e32 v3, vcc, v3, v1, vcc
.LBB10_2:
	s_load_dword s2, s[4:5], 0x54
	s_load_dword s21, s[4:5], 0x48
	s_waitcnt lgkmcnt(0)
	s_and_b32 s7, s2, 0xffff
	s_add_u32 s10, s0, -1
	s_mul_i32 s12, s21, s7
	s_addc_u32 s9, s1, -1
	s_lshl_b32 s13, s12, 2
	s_cmp_lg_u64 s[8:9], 0
	s_mov_b64 s[2:3], -1
	s_cbranch_scc0 .LBB10_27
; %bb.3:
	v_cvt_f32_u32_e32 v1, s13
	v_cvt_f32_ubyte0_e32 v4, 0
	s_sub_u32 s8, 0, s13
	s_subb_u32 s11, 0, 0
	v_madmk_f32 v1, v4, 0x4f800000, v1
	v_rcp_f32_e32 v1, v1
	v_mul_f32_e32 v1, 0x5f7ffffc, v1
	v_mul_f32_e32 v4, 0x2f800000, v1
	v_trunc_f32_e32 v4, v4
	v_madmk_f32 v1, v4, 0xcf800000, v1
	v_cvt_u32_f32_e32 v4, v4
	v_cvt_u32_f32_e32 v1, v1
	v_readfirstlane_b32 s14, v4
	v_readfirstlane_b32 s15, v1
	s_mul_i32 s16, s8, s14
	s_mul_hi_u32 s18, s8, s15
	s_mul_i32 s17, s11, s15
	s_add_i32 s16, s18, s16
	s_add_i32 s16, s16, s17
	s_mul_i32 s19, s8, s15
	s_mul_hi_u32 s17, s15, s16
	s_mul_i32 s18, s15, s16
	s_mul_hi_u32 s15, s15, s19
	s_add_u32 s15, s15, s18
	s_addc_u32 s17, 0, s17
	s_mul_hi_u32 s20, s14, s19
	s_mul_i32 s19, s14, s19
	s_add_u32 s15, s15, s19
	s_mul_hi_u32 s18, s14, s16
	s_addc_u32 s15, s17, s20
	s_addc_u32 s17, s18, 0
	s_mul_i32 s16, s14, s16
	s_add_u32 s15, s15, s16
	s_addc_u32 s16, 0, s17
	v_add_co_u32_e32 v1, vcc, s15, v1
	s_cmp_lg_u64 vcc, 0
	s_addc_u32 s14, s14, s16
	v_readfirstlane_b32 s16, v1
	s_mul_i32 s15, s8, s14
	s_mul_hi_u32 s17, s8, s16
	s_add_i32 s15, s17, s15
	s_mul_i32 s11, s11, s16
	s_add_i32 s15, s15, s11
	s_mul_i32 s8, s8, s16
	s_mul_hi_u32 s17, s14, s8
	s_mul_i32 s18, s14, s8
	s_mul_i32 s20, s16, s15
	s_mul_hi_u32 s8, s16, s8
	s_mul_hi_u32 s19, s16, s15
	s_add_u32 s8, s8, s20
	s_addc_u32 s16, 0, s19
	s_add_u32 s8, s8, s18
	s_mul_hi_u32 s11, s14, s15
	s_addc_u32 s8, s16, s17
	s_addc_u32 s11, s11, 0
	s_mul_i32 s15, s14, s15
	s_add_u32 s8, s8, s15
	s_addc_u32 s11, 0, s11
	v_add_co_u32_e32 v1, vcc, s8, v1
	s_cmp_lg_u64 vcc, 0
	s_addc_u32 s11, s14, s11
	s_ashr_i32 s14, s9, 31
	s_add_u32 s8, s10, s14
	s_mov_b32 s15, s14
	s_addc_u32 s9, s9, s14
	s_xor_b64 s[8:9], s[8:9], s[14:15]
	v_readfirstlane_b32 s18, v1
	s_mul_i32 s17, s8, s11
	s_mul_hi_u32 s19, s8, s18
	s_mul_hi_u32 s16, s8, s11
	s_add_u32 s17, s19, s17
	s_addc_u32 s16, 0, s16
	s_mul_hi_u32 s20, s9, s18
	s_mul_i32 s18, s9, s18
	s_add_u32 s17, s17, s18
	s_mul_hi_u32 s19, s9, s11
	s_addc_u32 s16, s16, s20
	s_addc_u32 s17, s19, 0
	s_mul_i32 s11, s9, s11
	s_add_u32 s11, s16, s11
	s_addc_u32 s16, 0, s17
	s_add_u32 s17, s11, 1
	s_addc_u32 s18, s16, 0
	s_add_u32 s19, s11, 2
	s_mul_i32 s22, s13, s16
	s_mul_hi_u32 s23, s13, s11
	s_addc_u32 s20, s16, 0
	s_add_i32 s23, s23, s22
	s_mul_i32 s22, s13, s11
	v_mov_b32_e32 v1, s22
	v_sub_co_u32_e32 v1, vcc, s8, v1
	s_cmp_lg_u64 vcc, 0
	s_subb_u32 s8, s9, s23
	v_subrev_co_u32_e32 v4, vcc, s13, v1
	s_cmp_lg_u64 vcc, 0
	s_subb_u32 s9, s8, 0
	v_readfirstlane_b32 s22, v4
	s_cmp_ge_u32 s22, s13
	s_cselect_b32 s22, -1, 0
	s_cmp_eq_u32 s9, 0
	s_cselect_b32 s9, s22, -1
	s_cmp_lg_u32 s9, 0
	s_cselect_b32 s9, s20, s18
	v_readfirstlane_b32 s18, v1
	s_cselect_b32 s17, s19, s17
	s_cmp_ge_u32 s18, s13
	s_cselect_b32 s18, -1, 0
	s_cmp_eq_u32 s8, 0
	s_cselect_b32 s8, s18, -1
	s_cmp_lg_u32 s8, 0
	s_cselect_b32 s9, s9, s16
	s_cselect_b32 s8, s17, s11
	s_xor_b64 s[8:9], s[8:9], s[14:15]
	s_sub_u32 s8, s8, s14
	s_subb_u32 s9, s9, s14
	s_cbranch_execnz .LBB10_5
.LBB10_4:
	v_cvt_f32_u32_e32 v1, s13
	s_sub_i32 s2, 0, s13
	s_mov_b32 s9, 0
	v_rcp_iflag_f32_e32 v1, v1
	v_mul_f32_e32 v1, 0x4f7ffffe, v1
	v_cvt_u32_f32_e32 v1, v1
	v_readfirstlane_b32 s3, v1
	s_mul_i32 s2, s2, s3
	s_mul_hi_u32 s2, s3, s2
	s_add_i32 s3, s3, s2
	s_mul_hi_u32 s2, s10, s3
	s_mul_i32 s8, s2, s13
	s_sub_i32 s8, s10, s8
	s_add_i32 s3, s2, 1
	s_sub_i32 s10, s8, s13
	s_cmp_ge_u32 s8, s13
	s_cselect_b32 s2, s3, s2
	s_cselect_b32 s8, s10, s8
	s_add_i32 s3, s2, 1
	s_cmp_ge_u32 s8, s13
	s_cselect_b32 s8, s3, s2
.LBB10_5:
	v_mov_b32_e32 v1, 0
	v_mov_b32_e32 v4, s6
	v_mad_u64_u32 v[16:17], s[2:3], s7, v4, v[0:1]
	s_add_u32 s2, s8, 1
	s_addc_u32 s3, s9, 0
	s_mul_hi_u32 s8, s21, s7
	s_mul_i32 s3, s12, s3
	s_mul_hi_u32 s9, s12, s2
	s_add_i32 s3, s9, s3
	s_mul_i32 s8, s8, s2
	s_add_i32 s3, s3, s8
	s_mul_i32 s2, s12, s2
	s_lshl_b64 s[2:3], s[2:3], 2
	v_cmp_gt_i64_e32 vcc, s[2:3], v[16:17]
	s_and_saveexec_b64 s[8:9], vcc
	s_cbranch_execz .LBB10_26
; %bb.6:
	s_load_dwordx2 s[8:9], s[4:5], 0x30
	s_load_dword s23, s[4:5], 0x38
	s_load_dwordx2 s[10:11], s[4:5], 0x40
	s_mov_b32 s4, 0x5384540f
	v_mov_b32_e32 v4, v15
	v_add_co_u32_e32 v22, vcc, s4, v14
	s_mov_b32 s4, 0x646e171e
	v_add_co_u32_e32 v23, vcc, s4, v4
	s_mov_b32 s4, 0x1715609d
	;; [unrolled: 2-line block ×6, first 2 shown]
	v_alignbit_b32 v29, v3, v2, 2
	s_mov_b32 s15, 0xd2511f53
	v_add_co_u32_e32 v28, vcc, s4, v14
	v_mad_u64_u32 v[6:7], s[4:5], v29, s15, 0
	v_xor_b32_e32 v1, v7, v15
	v_xor_b32_e32 v1, v1, v17
	s_mov_b32 s16, 0xcd9e8d57
	v_mad_u64_u32 v[8:9], s[4:5], v1, s16, 0
	v_xor_b32_e32 v1, v28, v9
	v_mad_u64_u32 v[10:11], s[4:5], v16, s16, 0
	v_and_b32_e32 v18, 3, v2
	v_xor_b32_e32 v1, v1, v10
	v_xor_b32_e32 v2, v14, v11
	v_lshrrev_b32_e32 v30, 2, v3
	v_mad_u64_u32 v[12:13], s[4:5], v1, s15, 0
	v_xor_b32_e32 v2, v2, v30
	v_xor_b32_e32 v1, v27, v13
	v_mad_u64_u32 v[2:3], s[4:5], v2, s15, 0
	v_xor_b32_e32 v1, v1, v2
	v_mad_u64_u32 v[10:11], s[4:5], v1, s16, 0
	s_mov_b32 s4, 0xbb67ae85
	v_add_co_u32_e32 v31, vcc, s4, v4
	v_xor_b32_e32 v2, v31, v3
	v_xor_b32_e32 v2, v2, v6
	v_xor_b32_e32 v1, v26, v11
	v_mad_u64_u32 v[2:3], s[4:5], v2, s16, 0
	v_xor_b32_e32 v1, v1, v2
	v_mad_u64_u32 v[6:7], s[4:5], v1, s15, 0
	s_mov_b32 s4, 0x3c6ef372
	v_add_co_u32_e32 v32, vcc, s4, v14
	v_xor_b32_e32 v2, v32, v3
	;; [unrolled: 8-line block ×6, first 2 shown]
	v_add_co_u32_e32 v21, vcc, 0xdb3d7428, v4
	v_xor_b32_e32 v2, v2, v8
	v_xor_b32_e32 v1, v21, v7
	v_mad_u64_u32 v[2:3], s[4:5], v2, s15, 0
	v_xor_b32_e32 v1, v1, v2
	v_mad_u64_u32 v[8:9], s[4:5], v1, s16, 0
	s_mov_b32 s4, 0x1fd5c5a3
	v_add_co_u32_e32 v37, vcc, s4, v4
	v_xor_b32_e32 v1, v37, v3
	v_xor_b32_e32 v1, v1, v12
	v_mad_u64_u32 v[2:3], s[4:5], v1, s16, 0
	s_mov_b32 s4, 0xf1bbcdc8
	v_add_u32_e32 v19, 0x8ff34781, v14
	v_xor_b32_e32 v1, v9, v2
	v_add_co_u32_e32 v38, vcc, s4, v14
	v_xor_b32_e32 v2, v19, v1
	v_xor_b32_e32 v1, v38, v3
	;; [unrolled: 1-line block ×3, first 2 shown]
	v_mad_u64_u32 v[10:11], s[4:5], v1, s15, 0
	v_add_u32_e32 v20, 0x96a522ad, v15
	v_xor_b32_e32 v1, v11, v6
	v_xor_b32_e32 v4, v20, v1
	s_waitcnt lgkmcnt(0)
	v_cvt_f32_f64_e32 v1, s[10:11]
	v_mov_b32_e32 v3, v8
	v_sub_f32_e32 v8, 1.0, v1
	v_add_f32_e32 v6, -1.0, v8
	v_sub_f32_e32 v7, v6, v8
	v_add_f32_e32 v7, 1.0, v7
	v_sub_f32_e64 v6, -v1, v6
	v_mov_b32_e32 v5, v10
	v_add_f32_e32 v9, v6, v7
	v_frexp_mant_f32_e32 v10, v8
	s_mov_b32 s4, 0x3f2aaaab
	v_cvt_f64_f32_e32 v[6:7], v8
	v_frexp_exp_i32_f64_e32 v6, v[6:7]
	v_cmp_gt_f32_e32 vcc, s4, v10
	v_subbrev_co_u32_e32 v6, vcc, 0, v6, vcc
	v_sub_u32_e32 v7, 0, v6
	v_ldexp_f32 v8, v8, v7
	v_ldexp_f32 v7, v9, v7
	v_add_f32_e32 v9, -1.0, v8
	v_add_f32_e32 v12, 1.0, v8
	v_add_f32_e32 v10, 1.0, v9
	v_add_f32_e32 v13, -1.0, v12
	v_sub_f32_e32 v10, v8, v10
	v_sub_f32_e32 v8, v8, v13
	v_add_f32_e32 v10, v7, v10
	v_add_f32_e32 v7, v7, v8
	;; [unrolled: 1-line block ×3, first 2 shown]
	v_rcp_f32_e32 v13, v8
	v_add_f32_e32 v11, v9, v10
	v_sub_f32_e32 v9, v11, v9
	v_sub_f32_e32 v9, v10, v9
	;; [unrolled: 1-line block ×4, first 2 shown]
	v_mul_f32_e32 v10, v11, v13
	v_mul_f32_e32 v12, v8, v10
	v_fma_f32 v39, v10, v8, -v12
	v_fmac_f32_e32 v39, v10, v7
	v_add_f32_e32 v40, v12, v39
	v_sub_f32_e32 v41, v11, v40
	v_sub_f32_e32 v11, v11, v41
	v_sub_f32_e32 v12, v40, v12
	v_sub_f32_e32 v11, v11, v40
	v_add_f32_e32 v9, v9, v11
	v_sub_f32_e32 v11, v12, v39
	v_add_f32_e32 v9, v11, v9
	v_add_f32_e32 v11, v41, v9
	v_mul_f32_e32 v12, v13, v11
	v_mul_f32_e32 v39, v8, v12
	v_fma_f32 v8, v12, v8, -v39
	v_fmac_f32_e32 v8, v12, v7
	v_sub_f32_e32 v7, v41, v11
	v_add_f32_e32 v7, v9, v7
	v_add_f32_e32 v9, v39, v8
	v_sub_f32_e32 v40, v11, v9
	v_sub_f32_e32 v11, v11, v40
	;; [unrolled: 1-line block ×4, first 2 shown]
	v_add_f32_e32 v7, v7, v9
	v_sub_f32_e32 v8, v39, v8
	v_add_f32_e32 v7, v8, v7
	v_add_f32_e32 v8, v10, v12
	;; [unrolled: 1-line block ×3, first 2 shown]
	v_sub_f32_e32 v9, v8, v10
	v_mul_f32_e32 v7, v13, v7
	v_sub_f32_e32 v9, v12, v9
	v_add_f32_e32 v7, v9, v7
	v_cvt_f32_i32_e32 v6, v6
	v_add_f32_e32 v9, v8, v7
	v_mul_f32_e32 v10, v9, v9
	v_mov_b32_e32 v11, 0x3ecc95a3
	v_fmac_f32_e32 v11, 0x3e9b6dac, v10
	v_mov_b32_e32 v12, 0x3f2aaada
	v_fmac_f32_e32 v12, v10, v11
	s_mov_b32 s4, 0x3f317218
	v_mul_f32_e32 v11, 0x3f317218, v6
	v_fma_f32 v13, v6, s4, -v11
	v_fmac_f32_e32 v13, 0xb102e308, v6
	v_sub_f32_e32 v6, v9, v8
	v_sub_f32_e32 v6, v7, v6
	v_add_f32_e32 v7, v11, v13
	v_sub_f32_e32 v8, v7, v11
	v_ldexp_f32 v11, v9, 1
	v_mul_f32_e32 v9, v9, v10
	v_mul_f32_e32 v9, v9, v12
	v_add_f32_e32 v10, v11, v9
	v_sub_f32_e32 v11, v10, v11
	v_ldexp_f32 v6, v6, 1
	v_sub_f32_e32 v9, v9, v11
	v_add_f32_e32 v6, v6, v9
	v_add_f32_e32 v9, v10, v6
	v_sub_f32_e32 v10, v9, v10
	v_sub_f32_e32 v6, v6, v10
	v_add_f32_e32 v10, v7, v9
	v_sub_f32_e32 v11, v10, v7
	v_sub_f32_e32 v12, v10, v11
	v_sub_f32_e32 v8, v13, v8
	v_sub_f32_e32 v7, v7, v12
	v_sub_f32_e32 v9, v9, v11
	v_add_f32_e32 v7, v9, v7
	v_add_f32_e32 v9, v8, v6
	v_sub_f32_e32 v11, v9, v8
	v_sub_f32_e32 v12, v9, v11
	;; [unrolled: 1-line block ×4, first 2 shown]
	v_add_f32_e32 v7, v9, v7
	v_add_f32_e32 v6, v6, v8
	;; [unrolled: 1-line block ×3, first 2 shown]
	v_sub_f32_e32 v9, v8, v10
	v_sub_f32_e32 v7, v7, v9
	v_add_f32_e32 v6, v6, v7
	s_mov_b32 s4, 0xff800000
	v_add_f32_e32 v6, v8, v6
	v_cmp_eq_f32_e32 vcc, s4, v1
	v_cndmask_b32_e64 v6, v6, -v1, vcc
	v_mov_b32_e32 v7, 0x7fc00000
	v_cmp_nlt_f32_e32 vcc, 1.0, v1
	v_cndmask_b32_e32 v6, v7, v6, vcc
	v_mov_b32_e32 v7, 0xff800000
	v_cmp_neq_f32_e32 vcc, 1.0, v1
	s_mov_b32 s4, 0x33800000
	v_cndmask_b32_e32 v6, v7, v6, vcc
	v_cmp_lt_f32_e64 s[4:5], |v1|, s4
	v_cndmask_b32_e64 v39, v6, -v1, s[4:5]
	s_mul_i32 s4, s6, s7
	v_add_u32_e32 v1, s4, v0
	s_mul_i32 s4, s21, s23
	s_mul_i32 s4, s4, s7
	s_lshl_b32 s22, s4, 2
	s_mul_i32 s4, s21, 3
	s_add_i32 s4, s6, s4
	s_mul_i32 s4, s4, s7
	v_mul_lo_u32 v40, s23, v1
	v_add_u32_e32 v1, s4, v0
	s_lshl_b32 s4, s21, 1
	s_add_i32 s4, s6, s4
	s_mul_i32 s4, s4, s7
	v_mul_lo_u32 v41, s23, v1
	v_add_u32_e32 v1, s4, v0
	s_add_i32 s4, s6, s21
	s_mul_i32 s4, s4, s7
	s_mov_b32 s14, 0
	v_add_u32_e32 v0, s4, v0
	s_lshl_b32 s17, s12, 1
	s_mov_b32 s18, s14
	s_mul_i32 s19, s12, 3
	s_mov_b32 s20, s14
	v_mul_lo_u32 v42, s23, v1
	v_mul_lo_u32 v43, s23, v0
	s_mov_b64 s[4:5], 0
	s_mov_b32 s21, 0x800000
	s_mov_b32 s23, 0x3f317217
	;; [unrolled: 1-line block ×3, first 2 shown]
	v_mov_b32_e32 v44, 0x4f800000
	v_mov_b32_e32 v45, 0x41b17218
	s_mov_b32 s25, s14
	v_mov_b32_e32 v46, v16
	v_mov_b32_e32 v47, v17
	s_branch .LBB10_8
.LBB10_7:                               ;   in Loop: Header=BB10_8 Depth=1
	s_or_b64 exec, exec, s[6:7]
	v_add_co_u32_e32 v16, vcc, s13, v16
	v_addc_co_u32_e32 v17, vcc, 0, v17, vcc
	v_mov_b32_e32 v9, v0
	s_add_i32 s25, s25, s22
	v_cmp_le_i64_e32 vcc, s[2:3], v[16:17]
	v_pk_mov_b32 v[2:3], v[6:7], v[6:7] op_sel:[0,1]
	s_or_b64 s[4:5], vcc, s[4:5]
	v_pk_mov_b32 v[4:5], v[8:9], v[8:9] op_sel:[0,1]
	s_barrier
	s_andn2_b64 exec, exec, s[4:5]
	s_cbranch_execz .LBB10_26
.LBB10_8:                               ; =>This Inner Loop Header: Depth=1
	v_add_co_u32_e32 v29, vcc, 1, v29
	v_cndmask_b32_e64 v0, 0, 1, vcc
	v_addc_co_u32_e32 v30, vcc, 0, v30, vcc
	v_cmp_eq_u32_e32 vcc, 0, v30
	v_cndmask_b32_e32 v0, 0, v0, vcc
	v_add_u32_e32 v46, v0, v46
	v_cmp_eq_u32_e32 vcc, 0, v46
	v_cndmask_b32_e32 v0, 0, v0, vcc
	v_add_u32_e32 v47, v0, v47
	v_mad_u64_u32 v[0:1], s[6:7], v29, s15, 0
	v_mad_u64_u32 v[6:7], s[6:7], v46, s16, 0
	v_xor_b32_e32 v1, v1, v15
	v_xor_b32_e32 v7, v7, v14
	v_xor_b32_e32 v1, v47, v1
	v_xor_b32_e32 v7, v30, v7
	v_mad_u64_u32 v[10:11], s[6:7], v1, s16, 0
	v_mad_u64_u32 v[8:9], s[6:7], v7, s15, 0
	v_xor_b32_e32 v1, v28, v11
	v_xor_b32_e32 v1, v1, v6
	v_xor_b32_e32 v6, v31, v9
	v_xor_b32_e32 v6, v6, v0
	;; [unrolled: 6-line block ×10, first 2 shown]
	v_mov_b32_e32 v7, v12
	v_mov_b32_e32 v8, v13
	v_cmp_lt_i32_e32 vcc, 1, v18
	s_and_saveexec_b64 s[6:7], vcc
	s_xor_b64 s[6:7], exec, s[6:7]
	s_cbranch_execnz .LBB10_18
; %bb.9:                                ;   in Loop: Header=BB10_8 Depth=1
	s_andn2_saveexec_b64 s[6:7], s[6:7]
	s_cbranch_execnz .LBB10_23
.LBB10_10:                              ;   in Loop: Header=BB10_8 Depth=1
	s_or_b64 exec, exec, s[6:7]
	v_cmp_gt_i64_e32 vcc, s[0:1], v[16:17]
	s_and_saveexec_b64 s[6:7], vcc
	s_cbranch_execz .LBB10_12
.LBB10_11:                              ;   in Loop: Header=BB10_8 Depth=1
	v_cvt_f32_u32_e32 v1, v2
	v_mov_b32_e32 v2, 0x2f800000
	v_mov_b32_e32 v11, s9
	v_fmac_f32_e32 v2, 0x2f800000, v1
	v_cmp_gt_f32_e32 vcc, s21, v2
	v_cndmask_b32_e32 v1, 1.0, v44, vcc
	v_mul_f32_e32 v1, v2, v1
	v_log_f32_e32 v1, v1
	v_cndmask_b32_e32 v2, 0, v45, vcc
	v_mul_f32_e32 v9, 0x3f317217, v1
	v_fma_f32 v10, v1, s23, -v9
	v_fmac_f32_e32 v10, 0x3377d1cf, v1
	v_add_f32_e32 v9, v9, v10
	v_cmp_lt_f32_e64 vcc, |v1|, s24
	v_cndmask_b32_e32 v1, v1, v9, vcc
	v_sub_f32_e32 v1, v1, v2
	v_div_scale_f32 v2, s[10:11], v39, v39, v1
	v_rcp_f32_e32 v9, v2
	v_add_u32_e32 v10, s25, v40
	v_ashrrev_i32_e32 v12, 31, v10
	v_fma_f32 v13, -v2, v9, 1.0
	v_fmac_f32_e32 v9, v13, v9
	v_div_scale_f32 v13, vcc, v1, v39, v1
	v_mul_f32_e32 v48, v13, v9
	v_fma_f32 v49, -v2, v48, v13
	v_fmac_f32_e32 v48, v49, v9
	v_fma_f32 v2, -v2, v48, v13
	v_div_fmas_f32 v2, v2, v9, v48
	v_div_fixup_f32 v1, v2, v39, v1
	v_ceil_f32_e32 v1, v1
	v_cvt_i32_f32_e32 v1, v1
	v_add_co_u32_e32 v10, vcc, s8, v10
	v_addc_co_u32_e32 v11, vcc, v11, v12, vcc
	global_store_dword v[10:11], v1, off
.LBB10_12:                              ;   in Loop: Header=BB10_8 Depth=1
	s_or_b64 exec, exec, s[6:7]
	v_mov_b32_e32 v1, s14
	v_add_co_u32_e32 v10, vcc, s12, v16
	v_addc_co_u32_e32 v11, vcc, v1, v17, vcc
	v_cmp_gt_i64_e32 vcc, s[0:1], v[10:11]
	s_and_saveexec_b64 s[6:7], vcc
	s_cbranch_execz .LBB10_14
; %bb.13:                               ;   in Loop: Header=BB10_8 Depth=1
	v_cvt_f32_u32_e32 v1, v3
	v_mov_b32_e32 v2, 0x2f800000
	v_mov_b32_e32 v10, s9
	v_fmac_f32_e32 v2, 0x2f800000, v1
	v_cmp_gt_f32_e32 vcc, s21, v2
	v_cndmask_b32_e32 v1, 1.0, v44, vcc
	v_mul_f32_e32 v1, v2, v1
	v_log_f32_e32 v1, v1
	v_cndmask_b32_e32 v2, 0, v45, vcc
	v_mul_f32_e32 v3, 0x3f317217, v1
	v_fma_f32 v9, v1, s23, -v3
	v_fmac_f32_e32 v9, 0x3377d1cf, v1
	v_add_f32_e32 v3, v3, v9
	v_cmp_lt_f32_e64 vcc, |v1|, s24
	v_cndmask_b32_e32 v1, v1, v3, vcc
	v_sub_f32_e32 v1, v1, v2
	v_div_scale_f32 v2, s[10:11], v39, v39, v1
	v_rcp_f32_e32 v3, v2
	v_add_u32_e32 v9, s25, v43
	v_ashrrev_i32_e32 v11, 31, v9
	v_fma_f32 v12, -v2, v3, 1.0
	v_fmac_f32_e32 v3, v12, v3
	v_div_scale_f32 v12, vcc, v1, v39, v1
	v_mul_f32_e32 v13, v12, v3
	v_fma_f32 v48, -v2, v13, v12
	v_fmac_f32_e32 v13, v48, v3
	v_fma_f32 v2, -v2, v13, v12
	v_div_fmas_f32 v2, v2, v3, v13
	v_div_fixup_f32 v1, v2, v39, v1
	v_ceil_f32_e32 v1, v1
	v_cvt_i32_f32_e32 v1, v1
	v_add_co_u32_e32 v2, vcc, s8, v9
	v_addc_co_u32_e32 v3, vcc, v10, v11, vcc
	global_store_dword v[2:3], v1, off
.LBB10_14:                              ;   in Loop: Header=BB10_8 Depth=1
	s_or_b64 exec, exec, s[6:7]
	v_mov_b32_e32 v1, s18
	v_add_co_u32_e32 v2, vcc, s17, v16
	v_addc_co_u32_e32 v3, vcc, v1, v17, vcc
	v_cmp_gt_i64_e32 vcc, s[0:1], v[2:3]
	s_and_saveexec_b64 s[6:7], vcc
	s_cbranch_execz .LBB10_16
; %bb.15:                               ;   in Loop: Header=BB10_8 Depth=1
	v_cvt_f32_u32_e32 v1, v4
	v_mov_b32_e32 v2, 0x2f800000
	v_mov_b32_e32 v9, s9
	v_fmac_f32_e32 v2, 0x2f800000, v1
	v_cmp_gt_f32_e32 vcc, s21, v2
	v_cndmask_b32_e32 v1, 1.0, v44, vcc
	v_mul_f32_e32 v1, v2, v1
	v_log_f32_e32 v1, v1
	v_cndmask_b32_e32 v2, 0, v45, vcc
	v_mul_f32_e32 v3, 0x3f317217, v1
	v_fma_f32 v4, v1, s23, -v3
	v_fmac_f32_e32 v4, 0x3377d1cf, v1
	v_add_f32_e32 v3, v3, v4
	v_cmp_lt_f32_e64 vcc, |v1|, s24
	v_cndmask_b32_e32 v1, v1, v3, vcc
	v_sub_f32_e32 v1, v1, v2
	v_div_scale_f32 v2, s[10:11], v39, v39, v1
	v_rcp_f32_e32 v3, v2
	v_add_u32_e32 v4, s25, v42
	v_ashrrev_i32_e32 v10, 31, v4
	v_fma_f32 v11, -v2, v3, 1.0
	v_fmac_f32_e32 v3, v11, v3
	v_div_scale_f32 v11, vcc, v1, v39, v1
	v_mul_f32_e32 v12, v11, v3
	v_fma_f32 v13, -v2, v12, v11
	v_fmac_f32_e32 v12, v13, v3
	v_fma_f32 v2, -v2, v12, v11
	v_div_fmas_f32 v2, v2, v3, v12
	v_div_fixup_f32 v1, v2, v39, v1
	v_ceil_f32_e32 v1, v1
	v_cvt_i32_f32_e32 v1, v1
	v_add_co_u32_e32 v2, vcc, s8, v4
	v_addc_co_u32_e32 v3, vcc, v9, v10, vcc
	global_store_dword v[2:3], v1, off
.LBB10_16:                              ;   in Loop: Header=BB10_8 Depth=1
	s_or_b64 exec, exec, s[6:7]
	v_mov_b32_e32 v1, s20
	v_add_co_u32_e32 v2, vcc, s19, v16
	v_addc_co_u32_e32 v3, vcc, v1, v17, vcc
	v_cmp_gt_i64_e32 vcc, s[0:1], v[2:3]
	s_and_saveexec_b64 s[6:7], vcc
	s_cbranch_execz .LBB10_7
; %bb.17:                               ;   in Loop: Header=BB10_8 Depth=1
	v_cvt_f32_u32_e32 v1, v5
	v_mov_b32_e32 v2, 0x2f800000
	v_mov_b32_e32 v5, s9
	v_fmac_f32_e32 v2, 0x2f800000, v1
	v_cmp_gt_f32_e32 vcc, s21, v2
	v_cndmask_b32_e32 v1, 1.0, v44, vcc
	v_mul_f32_e32 v1, v2, v1
	v_log_f32_e32 v1, v1
	v_cndmask_b32_e32 v2, 0, v45, vcc
	v_mul_f32_e32 v3, 0x3f317217, v1
	v_fma_f32 v4, v1, s23, -v3
	v_fmac_f32_e32 v4, 0x3377d1cf, v1
	v_add_f32_e32 v3, v3, v4
	v_cmp_lt_f32_e64 vcc, |v1|, s24
	v_cndmask_b32_e32 v1, v1, v3, vcc
	v_sub_f32_e32 v1, v1, v2
	v_div_scale_f32 v2, s[10:11], v39, v39, v1
	v_rcp_f32_e32 v3, v2
	v_add_u32_e32 v4, s25, v41
	v_ashrrev_i32_e32 v9, 31, v4
	v_fma_f32 v10, -v2, v3, 1.0
	v_fmac_f32_e32 v3, v10, v3
	v_div_scale_f32 v10, vcc, v1, v39, v1
	v_mul_f32_e32 v11, v10, v3
	v_fma_f32 v12, -v2, v11, v10
	v_fmac_f32_e32 v11, v12, v3
	v_fma_f32 v2, -v2, v11, v10
	v_div_fmas_f32 v2, v2, v3, v11
	v_div_fixup_f32 v1, v2, v39, v1
	v_ceil_f32_e32 v1, v1
	v_cvt_i32_f32_e32 v1, v1
	v_add_co_u32_e32 v2, vcc, s8, v4
	v_addc_co_u32_e32 v3, vcc, v5, v9, vcc
	global_store_dword v[2:3], v1, off
	s_branch .LBB10_7
.LBB10_18:                              ;   in Loop: Header=BB10_8 Depth=1
	v_cmp_lt_i32_e32 vcc, 2, v18
	s_and_saveexec_b64 s[10:11], vcc
	s_xor_b64 s[10:11], exec, s[10:11]
; %bb.19:                               ;   in Loop: Header=BB10_8 Depth=1
	v_mov_b32_e32 v10, v5
	v_mov_b32_e32 v11, v6
	v_pk_mov_b32 v[2:3], v[10:11], v[10:11] op_sel:[0,1]
	v_pk_mov_b32 v[4:5], v[12:13], v[12:13] op_sel:[0,1]
                                        ; implicit-def: $vgpr12_vgpr13
; %bb.20:                               ;   in Loop: Header=BB10_8 Depth=1
	s_andn2_saveexec_b64 s[10:11], s[10:11]
; %bb.21:                               ;   in Loop: Header=BB10_8 Depth=1
	v_mov_b32_e32 v2, v4
	v_mov_b32_e32 v3, v5
	;; [unrolled: 1-line block ×4, first 2 shown]
; %bb.22:                               ;   in Loop: Header=BB10_8 Depth=1
	s_or_b64 exec, exec, s[10:11]
	s_andn2_saveexec_b64 s[6:7], s[6:7]
	s_cbranch_execz .LBB10_10
.LBB10_23:                              ;   in Loop: Header=BB10_8 Depth=1
	v_cmp_eq_u32_e32 vcc, 1, v18
	s_and_saveexec_b64 s[10:11], vcc
; %bb.24:                               ;   in Loop: Header=BB10_8 Depth=1
	v_mov_b32_e32 v2, v3
	v_mov_b32_e32 v3, v4
	;; [unrolled: 1-line block ×4, first 2 shown]
; %bb.25:                               ;   in Loop: Header=BB10_8 Depth=1
	s_or_b64 exec, exec, s[10:11]
	s_or_b64 exec, exec, s[6:7]
	v_cmp_gt_i64_e32 vcc, s[0:1], v[16:17]
	s_and_saveexec_b64 s[6:7], vcc
	s_cbranch_execnz .LBB10_11
	s_branch .LBB10_12
.LBB10_26:
	s_endpgm
.LBB10_27:
                                        ; implicit-def: $sgpr8_sgpr9
	s_andn2_b64 vcc, exec, s[2:3]
	s_cbranch_vccz .LBB10_4
	s_branch .LBB10_5
	.section	.rodata,"a",@progbits
	.p2align	6, 0x0
	.amdhsa_kernel _ZN2at6native12_GLOBAL__N_143distribution_elementwise_grid_stride_kernelIfLi4EZNS0_9templates4cuda21uniform_and_transformIifPNS_17CUDAGeneratorImplEZZZNS4_16geometric_kernelIS7_EEvRNS_18TensorIteratorBaseEdT_ENKUlvE_clEvENKUlvE1_clEvEUlfE_EEvSA_T1_T2_EUlP25hiprandStatePhilox4_32_10E0_ZNS1_27distribution_nullary_kernelIif15HIP_vector_typeIfLj4EES7_SJ_SE_EEvSA_SG_RKT3_T4_EUlifE_EEvlNS_15PhiloxCudaStateESF_SG_
		.amdhsa_group_segment_fixed_size 0
		.amdhsa_private_segment_fixed_size 0
		.amdhsa_kernarg_size 328
		.amdhsa_user_sgpr_count 6
		.amdhsa_user_sgpr_private_segment_buffer 1
		.amdhsa_user_sgpr_dispatch_ptr 0
		.amdhsa_user_sgpr_queue_ptr 0
		.amdhsa_user_sgpr_kernarg_segment_ptr 1
		.amdhsa_user_sgpr_dispatch_id 0
		.amdhsa_user_sgpr_flat_scratch_init 0
		.amdhsa_user_sgpr_kernarg_preload_length 0
		.amdhsa_user_sgpr_kernarg_preload_offset 0
		.amdhsa_user_sgpr_private_segment_size 0
		.amdhsa_uses_dynamic_stack 0
		.amdhsa_system_sgpr_private_segment_wavefront_offset 0
		.amdhsa_system_sgpr_workgroup_id_x 1
		.amdhsa_system_sgpr_workgroup_id_y 0
		.amdhsa_system_sgpr_workgroup_id_z 0
		.amdhsa_system_sgpr_workgroup_info 0
		.amdhsa_system_vgpr_workitem_id 0
		.amdhsa_next_free_vgpr 50
		.amdhsa_next_free_sgpr 26
		.amdhsa_accum_offset 52
		.amdhsa_reserve_vcc 1
		.amdhsa_reserve_flat_scratch 0
		.amdhsa_float_round_mode_32 0
		.amdhsa_float_round_mode_16_64 0
		.amdhsa_float_denorm_mode_32 3
		.amdhsa_float_denorm_mode_16_64 3
		.amdhsa_dx10_clamp 1
		.amdhsa_ieee_mode 1
		.amdhsa_fp16_overflow 0
		.amdhsa_tg_split 0
		.amdhsa_exception_fp_ieee_invalid_op 0
		.amdhsa_exception_fp_denorm_src 0
		.amdhsa_exception_fp_ieee_div_zero 0
		.amdhsa_exception_fp_ieee_overflow 0
		.amdhsa_exception_fp_ieee_underflow 0
		.amdhsa_exception_fp_ieee_inexact 0
		.amdhsa_exception_int_div_zero 0
	.end_amdhsa_kernel
	.section	.text._ZN2at6native12_GLOBAL__N_143distribution_elementwise_grid_stride_kernelIfLi4EZNS0_9templates4cuda21uniform_and_transformIifPNS_17CUDAGeneratorImplEZZZNS4_16geometric_kernelIS7_EEvRNS_18TensorIteratorBaseEdT_ENKUlvE_clEvENKUlvE1_clEvEUlfE_EEvSA_T1_T2_EUlP25hiprandStatePhilox4_32_10E0_ZNS1_27distribution_nullary_kernelIif15HIP_vector_typeIfLj4EES7_SJ_SE_EEvSA_SG_RKT3_T4_EUlifE_EEvlNS_15PhiloxCudaStateESF_SG_,"axG",@progbits,_ZN2at6native12_GLOBAL__N_143distribution_elementwise_grid_stride_kernelIfLi4EZNS0_9templates4cuda21uniform_and_transformIifPNS_17CUDAGeneratorImplEZZZNS4_16geometric_kernelIS7_EEvRNS_18TensorIteratorBaseEdT_ENKUlvE_clEvENKUlvE1_clEvEUlfE_EEvSA_T1_T2_EUlP25hiprandStatePhilox4_32_10E0_ZNS1_27distribution_nullary_kernelIif15HIP_vector_typeIfLj4EES7_SJ_SE_EEvSA_SG_RKT3_T4_EUlifE_EEvlNS_15PhiloxCudaStateESF_SG_,comdat
.Lfunc_end10:
	.size	_ZN2at6native12_GLOBAL__N_143distribution_elementwise_grid_stride_kernelIfLi4EZNS0_9templates4cuda21uniform_and_transformIifPNS_17CUDAGeneratorImplEZZZNS4_16geometric_kernelIS7_EEvRNS_18TensorIteratorBaseEdT_ENKUlvE_clEvENKUlvE1_clEvEUlfE_EEvSA_T1_T2_EUlP25hiprandStatePhilox4_32_10E0_ZNS1_27distribution_nullary_kernelIif15HIP_vector_typeIfLj4EES7_SJ_SE_EEvSA_SG_RKT3_T4_EUlifE_EEvlNS_15PhiloxCudaStateESF_SG_, .Lfunc_end10-_ZN2at6native12_GLOBAL__N_143distribution_elementwise_grid_stride_kernelIfLi4EZNS0_9templates4cuda21uniform_and_transformIifPNS_17CUDAGeneratorImplEZZZNS4_16geometric_kernelIS7_EEvRNS_18TensorIteratorBaseEdT_ENKUlvE_clEvENKUlvE1_clEvEUlfE_EEvSA_T1_T2_EUlP25hiprandStatePhilox4_32_10E0_ZNS1_27distribution_nullary_kernelIif15HIP_vector_typeIfLj4EES7_SJ_SE_EEvSA_SG_RKT3_T4_EUlifE_EEvlNS_15PhiloxCudaStateESF_SG_
                                        ; -- End function
	.section	.AMDGPU.csdata,"",@progbits
; Kernel info:
; codeLenInByte = 3612
; NumSgprs: 30
; NumVgprs: 50
; NumAgprs: 0
; TotalNumVgprs: 50
; ScratchSize: 0
; MemoryBound: 0
; FloatMode: 240
; IeeeMode: 1
; LDSByteSize: 0 bytes/workgroup (compile time only)
; SGPRBlocks: 3
; VGPRBlocks: 6
; NumSGPRsForWavesPerEU: 30
; NumVGPRsForWavesPerEU: 50
; AccumOffset: 52
; Occupancy: 8
; WaveLimiterHint : 0
; COMPUTE_PGM_RSRC2:SCRATCH_EN: 0
; COMPUTE_PGM_RSRC2:USER_SGPR: 6
; COMPUTE_PGM_RSRC2:TRAP_HANDLER: 0
; COMPUTE_PGM_RSRC2:TGID_X_EN: 1
; COMPUTE_PGM_RSRC2:TGID_Y_EN: 0
; COMPUTE_PGM_RSRC2:TGID_Z_EN: 0
; COMPUTE_PGM_RSRC2:TIDIG_COMP_CNT: 0
; COMPUTE_PGM_RSRC3_GFX90A:ACCUM_OFFSET: 12
; COMPUTE_PGM_RSRC3_GFX90A:TG_SPLIT: 0
	.section	.text._ZN2at6native12_GLOBAL__N_143distribution_elementwise_grid_stride_kernelIfLi4EZNS0_9templates4cuda21uniform_and_transformIifPNS_17CUDAGeneratorImplEZZZNS4_16geometric_kernelIS7_EEvRNS_18TensorIteratorBaseEdT_ENKUlvE_clEvENKUlvE1_clEvEUlfE_EEvSA_T1_T2_EUlP25hiprandStatePhilox4_32_10E0_ZNS1_27distribution_nullary_kernelIif15HIP_vector_typeIfLj4EES7_SJ_SE_EEvSA_SG_RKT3_T4_EUlifE0_EEvlNS_15PhiloxCudaStateESF_SG_,"axG",@progbits,_ZN2at6native12_GLOBAL__N_143distribution_elementwise_grid_stride_kernelIfLi4EZNS0_9templates4cuda21uniform_and_transformIifPNS_17CUDAGeneratorImplEZZZNS4_16geometric_kernelIS7_EEvRNS_18TensorIteratorBaseEdT_ENKUlvE_clEvENKUlvE1_clEvEUlfE_EEvSA_T1_T2_EUlP25hiprandStatePhilox4_32_10E0_ZNS1_27distribution_nullary_kernelIif15HIP_vector_typeIfLj4EES7_SJ_SE_EEvSA_SG_RKT3_T4_EUlifE0_EEvlNS_15PhiloxCudaStateESF_SG_,comdat
	.globl	_ZN2at6native12_GLOBAL__N_143distribution_elementwise_grid_stride_kernelIfLi4EZNS0_9templates4cuda21uniform_and_transformIifPNS_17CUDAGeneratorImplEZZZNS4_16geometric_kernelIS7_EEvRNS_18TensorIteratorBaseEdT_ENKUlvE_clEvENKUlvE1_clEvEUlfE_EEvSA_T1_T2_EUlP25hiprandStatePhilox4_32_10E0_ZNS1_27distribution_nullary_kernelIif15HIP_vector_typeIfLj4EES7_SJ_SE_EEvSA_SG_RKT3_T4_EUlifE0_EEvlNS_15PhiloxCudaStateESF_SG_ ; -- Begin function _ZN2at6native12_GLOBAL__N_143distribution_elementwise_grid_stride_kernelIfLi4EZNS0_9templates4cuda21uniform_and_transformIifPNS_17CUDAGeneratorImplEZZZNS4_16geometric_kernelIS7_EEvRNS_18TensorIteratorBaseEdT_ENKUlvE_clEvENKUlvE1_clEvEUlfE_EEvSA_T1_T2_EUlP25hiprandStatePhilox4_32_10E0_ZNS1_27distribution_nullary_kernelIif15HIP_vector_typeIfLj4EES7_SJ_SE_EEvSA_SG_RKT3_T4_EUlifE0_EEvlNS_15PhiloxCudaStateESF_SG_
	.p2align	8
	.type	_ZN2at6native12_GLOBAL__N_143distribution_elementwise_grid_stride_kernelIfLi4EZNS0_9templates4cuda21uniform_and_transformIifPNS_17CUDAGeneratorImplEZZZNS4_16geometric_kernelIS7_EEvRNS_18TensorIteratorBaseEdT_ENKUlvE_clEvENKUlvE1_clEvEUlfE_EEvSA_T1_T2_EUlP25hiprandStatePhilox4_32_10E0_ZNS1_27distribution_nullary_kernelIif15HIP_vector_typeIfLj4EES7_SJ_SE_EEvSA_SG_RKT3_T4_EUlifE0_EEvlNS_15PhiloxCudaStateESF_SG_,@function
_ZN2at6native12_GLOBAL__N_143distribution_elementwise_grid_stride_kernelIfLi4EZNS0_9templates4cuda21uniform_and_transformIifPNS_17CUDAGeneratorImplEZZZNS4_16geometric_kernelIS7_EEvRNS_18TensorIteratorBaseEdT_ENKUlvE_clEvENKUlvE1_clEvEUlfE_EEvSA_T1_T2_EUlP25hiprandStatePhilox4_32_10E0_ZNS1_27distribution_nullary_kernelIif15HIP_vector_typeIfLj4EES7_SJ_SE_EEvSA_SG_RKT3_T4_EUlifE0_EEvlNS_15PhiloxCudaStateESF_SG_: ; @_ZN2at6native12_GLOBAL__N_143distribution_elementwise_grid_stride_kernelIfLi4EZNS0_9templates4cuda21uniform_and_transformIifPNS_17CUDAGeneratorImplEZZZNS4_16geometric_kernelIS7_EEvRNS_18TensorIteratorBaseEdT_ENKUlvE_clEvENKUlvE1_clEvEUlfE_EEvSA_T1_T2_EUlP25hiprandStatePhilox4_32_10E0_ZNS1_27distribution_nullary_kernelIif15HIP_vector_typeIfLj4EES7_SJ_SE_EEvSA_SG_RKT3_T4_EUlifE0_EEvlNS_15PhiloxCudaStateESF_SG_
; %bb.0:
	s_load_dword s2, s[4:5], 0x20
	s_load_dwordx2 s[0:1], s[4:5], 0x10
	s_load_dwordx4 s[24:27], s[4:5], 0x0
	s_waitcnt lgkmcnt(0)
	s_bitcmp0_b32 s2, 0
	s_mov_b32 s2, 0
	v_pk_mov_b32 v[2:3], s[0:1], s[0:1] op_sel:[0,1]
	v_pk_mov_b32 v[12:13], s[26:27], s[26:27] op_sel:[0,1]
	s_cbranch_scc1 .LBB11_2
; %bb.1:
	v_pk_mov_b32 v[2:3], s[0:1], s[0:1] op_sel:[0,1]
	flat_load_dwordx2 v[2:3], v[2:3]
	v_pk_mov_b32 v[4:5], s[26:27], s[26:27] op_sel:[0,1]
	flat_load_dwordx2 v[12:13], v[4:5]
	s_load_dwordx2 s[0:1], s[4:5], 0x18
	s_waitcnt lgkmcnt(0)
	v_mov_b32_e32 v1, s1
	s_waitcnt vmcnt(0)
	v_add_co_u32_e32 v2, vcc, s0, v2
	v_addc_co_u32_e32 v3, vcc, v3, v1, vcc
.LBB11_2:
	s_load_dword s0, s[4:5], 0x154
	s_load_dword s7, s[4:5], 0x148
	s_waitcnt lgkmcnt(0)
	s_and_b32 s8, s0, 0xffff
	s_add_u32 s9, s24, -1
	s_mul_i32 s33, s7, s8
	s_addc_u32 s3, s25, -1
	s_lshl_b32 s58, s33, 2
	s_cmp_lg_u64 s[2:3], 0
	s_mov_b64 s[0:1], -1
	s_cbranch_scc0 .LBB11_83
; %bb.3:
	v_cvt_f32_u32_e32 v1, s58
	v_cvt_f32_ubyte0_e32 v4, 0
	s_sub_u32 s2, 0, s58
	s_subb_u32 s10, 0, 0
	v_madmk_f32 v1, v4, 0x4f800000, v1
	v_rcp_f32_e32 v1, v1
	v_mul_f32_e32 v1, 0x5f7ffffc, v1
	v_mul_f32_e32 v4, 0x2f800000, v1
	v_trunc_f32_e32 v4, v4
	v_madmk_f32 v1, v4, 0xcf800000, v1
	v_cvt_u32_f32_e32 v4, v4
	v_cvt_u32_f32_e32 v1, v1
	v_readfirstlane_b32 s11, v4
	v_readfirstlane_b32 s12, v1
	s_mul_i32 s13, s2, s11
	s_mul_hi_u32 s15, s2, s12
	s_mul_i32 s14, s10, s12
	s_add_i32 s13, s15, s13
	s_add_i32 s13, s13, s14
	s_mul_i32 s16, s2, s12
	s_mul_hi_u32 s14, s12, s13
	s_mul_i32 s15, s12, s13
	s_mul_hi_u32 s12, s12, s16
	s_add_u32 s12, s12, s15
	s_addc_u32 s14, 0, s14
	s_mul_hi_u32 s17, s11, s16
	s_mul_i32 s16, s11, s16
	s_add_u32 s12, s12, s16
	s_mul_hi_u32 s15, s11, s13
	s_addc_u32 s12, s14, s17
	s_addc_u32 s14, s15, 0
	s_mul_i32 s13, s11, s13
	s_add_u32 s12, s12, s13
	s_addc_u32 s13, 0, s14
	v_add_co_u32_e32 v1, vcc, s12, v1
	s_cmp_lg_u64 vcc, 0
	s_addc_u32 s11, s11, s13
	v_readfirstlane_b32 s13, v1
	s_mul_i32 s12, s2, s11
	s_mul_hi_u32 s14, s2, s13
	s_add_i32 s12, s14, s12
	s_mul_i32 s10, s10, s13
	s_add_i32 s12, s12, s10
	s_mul_i32 s2, s2, s13
	s_mul_hi_u32 s14, s11, s2
	s_mul_i32 s15, s11, s2
	s_mul_i32 s17, s13, s12
	s_mul_hi_u32 s2, s13, s2
	s_mul_hi_u32 s16, s13, s12
	s_add_u32 s2, s2, s17
	s_addc_u32 s13, 0, s16
	s_add_u32 s2, s2, s15
	s_mul_hi_u32 s10, s11, s12
	s_addc_u32 s2, s13, s14
	s_addc_u32 s10, s10, 0
	s_mul_i32 s12, s11, s12
	s_add_u32 s2, s2, s12
	s_addc_u32 s10, 0, s10
	v_add_co_u32_e32 v1, vcc, s2, v1
	s_cmp_lg_u64 vcc, 0
	s_addc_u32 s12, s11, s10
	s_ashr_i32 s10, s3, 31
	s_add_u32 s2, s9, s10
	s_mov_b32 s11, s10
	s_addc_u32 s3, s3, s10
	s_xor_b64 s[2:3], s[2:3], s[10:11]
	v_readfirstlane_b32 s15, v1
	s_mul_i32 s14, s2, s12
	s_mul_hi_u32 s16, s2, s15
	s_mul_hi_u32 s13, s2, s12
	s_add_u32 s14, s16, s14
	s_addc_u32 s13, 0, s13
	s_mul_hi_u32 s17, s3, s15
	s_mul_i32 s15, s3, s15
	s_add_u32 s14, s14, s15
	s_mul_hi_u32 s16, s3, s12
	s_addc_u32 s13, s13, s17
	s_addc_u32 s14, s16, 0
	s_mul_i32 s12, s3, s12
	s_add_u32 s12, s13, s12
	s_addc_u32 s13, 0, s14
	s_add_u32 s14, s12, 1
	s_addc_u32 s15, s13, 0
	s_add_u32 s16, s12, 2
	s_mul_i32 s18, s58, s13
	s_mul_hi_u32 s19, s58, s12
	s_addc_u32 s17, s13, 0
	s_add_i32 s19, s19, s18
	s_mul_i32 s18, s58, s12
	v_mov_b32_e32 v1, s18
	v_sub_co_u32_e32 v1, vcc, s2, v1
	s_cmp_lg_u64 vcc, 0
	s_subb_u32 s2, s3, s19
	v_subrev_co_u32_e32 v4, vcc, s58, v1
	s_cmp_lg_u64 vcc, 0
	s_subb_u32 s3, s2, 0
	v_readfirstlane_b32 s18, v4
	s_cmp_ge_u32 s18, s58
	s_cselect_b32 s18, -1, 0
	s_cmp_eq_u32 s3, 0
	s_cselect_b32 s3, s18, -1
	s_cmp_lg_u32 s3, 0
	s_cselect_b32 s3, s17, s15
	v_readfirstlane_b32 s15, v1
	s_cselect_b32 s14, s16, s14
	s_cmp_ge_u32 s15, s58
	s_cselect_b32 s15, -1, 0
	s_cmp_eq_u32 s2, 0
	s_cselect_b32 s2, s15, -1
	s_cmp_lg_u32 s2, 0
	s_cselect_b32 s3, s3, s13
	s_cselect_b32 s2, s14, s12
	s_xor_b64 s[2:3], s[2:3], s[10:11]
	s_sub_u32 s2, s2, s10
	s_subb_u32 s3, s3, s10
	s_cbranch_execnz .LBB11_5
.LBB11_4:
	v_cvt_f32_u32_e32 v1, s58
	s_sub_i32 s0, 0, s58
	s_mov_b32 s3, 0
	v_rcp_iflag_f32_e32 v1, v1
	v_mul_f32_e32 v1, 0x4f7ffffe, v1
	v_cvt_u32_f32_e32 v1, v1
	v_readfirstlane_b32 s1, v1
	s_mul_i32 s0, s0, s1
	s_mul_hi_u32 s0, s1, s0
	s_add_i32 s1, s1, s0
	s_mul_hi_u32 s0, s9, s1
	s_mul_i32 s2, s0, s58
	s_sub_i32 s2, s9, s2
	s_add_i32 s1, s0, 1
	s_sub_i32 s9, s2, s58
	s_cmp_ge_u32 s2, s58
	s_cselect_b32 s0, s1, s0
	s_cselect_b32 s2, s9, s2
	s_add_i32 s1, s0, 1
	s_cmp_ge_u32 s2, s58
	s_cselect_b32 s2, s1, s0
.LBB11_5:
	v_mov_b32_e32 v1, 0
	v_mov_b32_e32 v4, s6
	v_mad_u64_u32 v[14:15], s[0:1], s8, v4, v[0:1]
	s_add_u32 s0, s2, 1
	s_addc_u32 s1, s3, 0
	s_mul_hi_u32 s2, s7, s8
	s_mul_i32 s1, s33, s1
	s_mul_hi_u32 s3, s33, s0
	s_add_i32 s1, s3, s1
	s_mul_i32 s2, s2, s0
	s_add_i32 s1, s1, s2
	s_mul_i32 s0, s33, s0
	s_lshl_b64 s[26:27], s[0:1], 2
	v_cmp_gt_i64_e32 vcc, s[26:27], v[14:15]
	s_and_saveexec_b64 s[0:1], vcc
	s_cbranch_execz .LBB11_82
; %bb.6:
	s_mov_b32 s0, 0x5384540f
	v_mov_b32_e32 v0, v13
	v_add_co_u32_e32 v22, vcc, s0, v12
	s_mov_b32 s0, 0x646e171e
	v_add_co_u32_e32 v23, vcc, s0, v0
	s_mov_b32 s0, 0x1715609d
	;; [unrolled: 2-line block ×6, first 2 shown]
	v_alignbit_b32 v29, v3, v2, 2
	s_mov_b32 s60, 0xd2511f53
	v_add_co_u32_e32 v28, vcc, s0, v12
	v_mad_u64_u32 v[4:5], s[0:1], v29, s60, 0
	v_xor_b32_e32 v1, v5, v13
	v_xor_b32_e32 v1, v1, v15
	s_mov_b32 s61, 0xcd9e8d57
	v_mad_u64_u32 v[6:7], s[0:1], v1, s61, 0
	v_xor_b32_e32 v1, v28, v7
	v_mad_u64_u32 v[8:9], s[0:1], v14, s61, 0
	v_and_b32_e32 v18, 3, v2
	v_xor_b32_e32 v1, v1, v8
	v_xor_b32_e32 v2, v12, v9
	v_lshrrev_b32_e32 v30, 2, v3
	v_mad_u64_u32 v[10:11], s[0:1], v1, s60, 0
	v_xor_b32_e32 v2, v2, v30
	v_xor_b32_e32 v1, v27, v11
	v_mad_u64_u32 v[2:3], s[0:1], v2, s60, 0
	v_xor_b32_e32 v1, v1, v2
	v_mad_u64_u32 v[8:9], s[0:1], v1, s61, 0
	s_mov_b32 s0, 0xbb67ae85
	v_add_co_u32_e32 v31, vcc, s0, v0
	v_xor_b32_e32 v2, v31, v3
	v_xor_b32_e32 v2, v2, v4
	v_xor_b32_e32 v1, v26, v9
	v_mad_u64_u32 v[2:3], s[0:1], v2, s61, 0
	v_xor_b32_e32 v1, v1, v2
	v_mad_u64_u32 v[4:5], s[0:1], v1, s60, 0
	s_mov_b32 s0, 0x3c6ef372
	v_add_co_u32_e32 v32, vcc, s0, v12
	v_xor_b32_e32 v2, v32, v3
	;; [unrolled: 8-line block ×6, first 2 shown]
	v_add_co_u32_e32 v21, vcc, 0xdb3d7428, v0
	v_xor_b32_e32 v2, v2, v6
	v_xor_b32_e32 v1, v21, v5
	v_mad_u64_u32 v[2:3], s[0:1], v2, s60, 0
	v_xor_b32_e32 v1, v1, v2
	v_mad_u64_u32 v[6:7], s[0:1], v1, s61, 0
	s_mov_b32 s0, 0x1fd5c5a3
	v_add_co_u32_e32 v37, vcc, s0, v0
	v_xor_b32_e32 v0, v37, v3
	v_xor_b32_e32 v0, v0, v10
	v_mad_u64_u32 v[0:1], s[0:1], v0, s61, 0
	s_mov_b32 s0, 0xf1bbcdc8
	v_add_co_u32_e32 v38, vcc, s0, v12
	s_load_dwordx2 s[46:47], s[4:5], 0xf4
	s_load_dwordx4 s[28:31], s[4:5], 0x138
	v_xor_b32_e32 v1, v38, v1
	v_xor_b32_e32 v1, v1, v8
	v_mad_u64_u32 v[8:9], s[0:1], v1, s60, 0
	v_add_u32_e32 v20, 0x96a522ad, v13
	v_xor_b32_e32 v1, v9, v4
	v_xor_b32_e32 v2, v20, v1
	v_mov_b32_e32 v1, v6
	s_waitcnt lgkmcnt(0)
	v_cvt_f32_f64_e32 v6, s[30:31]
	v_xor_b32_e32 v0, v7, v0
	v_sub_f32_e32 v7, 1.0, v6
	v_add_f32_e32 v4, -1.0, v7
	v_sub_f32_e32 v5, v4, v7
	v_add_f32_e32 v5, 1.0, v5
	v_sub_f32_e64 v4, -v6, v4
	v_mov_b32_e32 v3, v8
	v_add_f32_e32 v8, v4, v5
	v_frexp_mant_f32_e32 v9, v7
	s_mov_b32 s0, 0x3f2aaaab
	v_cvt_f64_f32_e32 v[4:5], v7
	v_frexp_exp_i32_f64_e32 v4, v[4:5]
	v_cmp_gt_f32_e32 vcc, s0, v9
	v_subbrev_co_u32_e32 v4, vcc, 0, v4, vcc
	v_sub_u32_e32 v5, 0, v4
	v_ldexp_f32 v7, v7, v5
	v_ldexp_f32 v5, v8, v5
	v_add_f32_e32 v8, -1.0, v7
	v_add_f32_e32 v11, 1.0, v7
	v_add_f32_e32 v9, 1.0, v8
	v_add_f32_e32 v16, -1.0, v11
	v_sub_f32_e32 v9, v7, v9
	v_sub_f32_e32 v7, v7, v16
	v_add_f32_e32 v9, v5, v9
	v_add_f32_e32 v5, v5, v7
	;; [unrolled: 1-line block ×3, first 2 shown]
	v_rcp_f32_e32 v16, v7
	v_add_f32_e32 v10, v8, v9
	v_sub_f32_e32 v8, v10, v8
	v_sub_f32_e32 v8, v9, v8
	;; [unrolled: 1-line block ×4, first 2 shown]
	v_mul_f32_e32 v9, v10, v16
	v_mul_f32_e32 v11, v7, v9
	v_fma_f32 v17, v9, v7, -v11
	v_fmac_f32_e32 v17, v9, v5
	v_add_f32_e32 v39, v11, v17
	v_sub_f32_e32 v40, v10, v39
	v_sub_f32_e32 v10, v10, v40
	;; [unrolled: 1-line block ×4, first 2 shown]
	v_add_f32_e32 v8, v8, v10
	v_sub_f32_e32 v10, v11, v17
	v_add_f32_e32 v8, v10, v8
	v_add_f32_e32 v10, v40, v8
	v_mul_f32_e32 v11, v16, v10
	v_mul_f32_e32 v17, v7, v11
	v_fma_f32 v7, v11, v7, -v17
	v_fmac_f32_e32 v7, v11, v5
	v_sub_f32_e32 v5, v40, v10
	v_add_f32_e32 v5, v8, v5
	v_add_f32_e32 v8, v17, v7
	v_sub_f32_e32 v39, v10, v8
	v_sub_f32_e32 v10, v10, v39
	;; [unrolled: 1-line block ×4, first 2 shown]
	v_add_f32_e32 v5, v5, v8
	v_sub_f32_e32 v7, v17, v7
	v_add_f32_e32 v5, v7, v5
	v_add_f32_e32 v7, v9, v11
	;; [unrolled: 1-line block ×3, first 2 shown]
	v_sub_f32_e32 v8, v7, v9
	v_mul_f32_e32 v5, v16, v5
	v_sub_f32_e32 v8, v11, v8
	v_add_f32_e32 v5, v8, v5
	v_cvt_f32_i32_e32 v4, v4
	v_add_f32_e32 v8, v7, v5
	v_mul_f32_e32 v9, v8, v8
	v_mov_b32_e32 v10, 0x3ecc95a3
	v_fmac_f32_e32 v10, 0x3e9b6dac, v9
	v_mov_b32_e32 v11, 0x3f2aaada
	v_fmac_f32_e32 v11, v9, v10
	s_mov_b32 s0, 0x3f317218
	v_mul_f32_e32 v10, 0x3f317218, v4
	v_fma_f32 v16, v4, s0, -v10
	v_fmac_f32_e32 v16, 0xb102e308, v4
	v_sub_f32_e32 v4, v8, v7
	v_sub_f32_e32 v4, v5, v4
	v_add_f32_e32 v5, v10, v16
	v_sub_f32_e32 v7, v5, v10
	v_ldexp_f32 v10, v8, 1
	v_mul_f32_e32 v8, v8, v9
	v_mul_f32_e32 v8, v8, v11
	v_add_f32_e32 v9, v10, v8
	v_sub_f32_e32 v10, v9, v10
	v_ldexp_f32 v4, v4, 1
	v_sub_f32_e32 v8, v8, v10
	v_add_f32_e32 v4, v4, v8
	v_add_f32_e32 v8, v9, v4
	v_sub_f32_e32 v9, v8, v9
	s_load_dwordx8 s[8:15], s[4:5], 0x30
	v_sub_f32_e32 v4, v4, v9
	v_add_f32_e32 v9, v5, v8
	v_sub_f32_e32 v10, v9, v5
	v_sub_f32_e32 v11, v9, v10
	;; [unrolled: 1-line block ×5, first 2 shown]
	s_add_u32 s34, s4, 48
	v_add_f32_e32 v5, v8, v5
	v_add_f32_e32 v8, v7, v4
	s_addc_u32 s35, s5, 0
	s_waitcnt lgkmcnt(0)
	s_add_i32 s2, s8, -1
	v_sub_f32_e32 v10, v8, v7
	s_cmp_gt_u32 s2, 1
	v_sub_f32_e32 v11, v8, v10
	s_cselect_b64 s[40:41], -1, 0
	s_cmp_lg_u32 s8, 0
	v_sub_f32_e32 v7, v7, v11
	v_sub_f32_e32 v4, v4, v10
	v_add_f32_e32 v5, v8, v5
	s_cselect_b64 s[42:43], -1, 0
	s_add_u32 s44, s4, 0xf4
	v_add_f32_e32 v4, v4, v7
	v_add_f32_e32 v7, v9, v5
	s_addc_u32 s45, s5, 0
	s_min_u32 s3, s2, 15
	v_sub_f32_e32 v8, v7, v9
	s_cmp_gt_u32 s8, 1
	v_sub_f32_e32 v5, v5, v8
	s_cselect_b64 s[48:49], -1, 0
	v_add_f32_e32 v4, v4, v5
	s_mov_b32 s0, 0xff800000
	s_add_i32 s3, s3, 1
	s_mov_b32 s8, s13
	v_add_f32_e32 v4, v7, v4
	v_cmp_eq_f32_e32 vcc, s0, v6
	s_lshl_b32 s13, s33, 1
	s_and_b32 s64, s3, 3
	v_cndmask_b32_e64 v4, v4, -v6, vcc
	v_mov_b32_e32 v5, 0x7fc00000
	v_cmp_nlt_f32_e32 vcc, 1.0, v6
	s_cmp_lg_u32 s2, 2
	v_cndmask_b32_e32 v4, v5, v4, vcc
	v_mov_b32_e32 v5, 0xff800000
	v_cmp_neq_f32_e32 vcc, 1.0, v6
	s_mov_b32 s0, 0x33800000
	s_cselect_b64 s[30:31], -1, 0
	s_and_b32 s65, s3, 28
	s_mov_b32 s59, 0
	v_add_u32_e32 v19, 0x8ff34781, v12
	v_cndmask_b32_e32 v4, v5, v4, vcc
	v_cmp_lt_f32_e64 s[0:1], |v6|, s0
	s_cmp_lg_u32 s64, 0
	v_xor_b32_e32 v0, v19, v0
	v_cndmask_b32_e64 v39, v4, -v6, s[0:1]
	s_mov_b32 s15, s59
	s_mul_i32 s62, s33, 3
	s_mov_b32 s63, s59
	s_mov_b64 s[50:51], 0
	s_cselect_b64 s[52:53], -1, 0
	s_mov_b32 s66, 0x800000
	s_mov_b32 s67, 0x3f317217
	;; [unrolled: 1-line block ×3, first 2 shown]
	v_mov_b32_e32 v40, 0x4f800000
	v_mov_b32_e32 v41, 0x41b17218
	;; [unrolled: 1-line block ×4, first 2 shown]
	s_branch .LBB11_9
.LBB11_7:                               ;   in Loop: Header=BB11_9 Depth=1
	v_cvt_f32_u32_e32 v1, v3
	v_mov_b32_e32 v2, 0x2f800000
	v_fmac_f32_e32 v2, 0x2f800000, v1
	v_cmp_gt_f32_e32 vcc, s66, v2
	v_cndmask_b32_e32 v1, 1.0, v40, vcc
	v_mul_f32_e32 v1, v2, v1
	v_log_f32_e32 v1, v1
	v_cndmask_b32_e32 v2, 0, v41, vcc
	v_mul_f32_e32 v3, 0x3f317217, v1
	v_fma_f32 v7, v1, s67, -v3
	v_fmac_f32_e32 v7, 0x3377d1cf, v1
	v_add_f32_e32 v3, v3, v7
	v_cmp_lt_f32_e64 vcc, |v1|, s68
	v_cndmask_b32_e32 v1, v1, v3, vcc
	v_sub_f32_e32 v1, v1, v2
	v_div_scale_f32 v2, s[0:1], v39, v39, v1
	v_rcp_f32_e32 v3, v2
	v_div_scale_f32 v7, vcc, v1, v39, v1
	v_fma_f32 v8, -v2, v3, 1.0
	v_fmac_f32_e32 v3, v8, v3
	v_mul_f32_e32 v8, v7, v3
	v_fma_f32 v9, -v2, v8, v7
	v_fmac_f32_e32 v8, v9, v3
	v_fma_f32 v2, -v2, v8, v7
	v_div_fmas_f32 v2, v2, v3, v8
	v_div_fixup_f32 v1, v2, v39, v1
	v_ceil_f32_e32 v1, v1
	v_cvt_i32_f32_e32 v1, v1
	global_store_dword v0, v1, s[28:29]
.LBB11_8:                               ;   in Loop: Header=BB11_9 Depth=1
	s_or_b64 exec, exec, s[36:37]
	v_add_co_u32_e32 v14, vcc, s58, v14
	v_addc_co_u32_e32 v15, vcc, 0, v15, vcc
	v_mov_b32_e32 v7, v16
	v_cmp_le_i64_e32 vcc, s[26:27], v[14:15]
	v_pk_mov_b32 v[0:1], v[4:5], v[4:5] op_sel:[0,1]
	s_or_b64 s[50:51], vcc, s[50:51]
	v_pk_mov_b32 v[2:3], v[6:7], v[6:7] op_sel:[0,1]
	s_barrier
	s_andn2_b64 exec, exec, s[50:51]
	s_cbranch_execz .LBB11_82
.LBB11_9:                               ; =>This Loop Header: Depth=1
                                        ;     Child Loop BB11_24 Depth 2
                                        ;     Child Loop BB11_30 Depth 2
	;; [unrolled: 1-line block ×8, first 2 shown]
	v_add_co_u32_e32 v29, vcc, 1, v29
	v_cndmask_b32_e64 v4, 0, 1, vcc
	v_addc_co_u32_e32 v30, vcc, 0, v30, vcc
	v_cmp_eq_u32_e32 vcc, 0, v30
	v_cndmask_b32_e32 v4, 0, v4, vcc
	v_add_u32_e32 v42, v4, v42
	v_cmp_eq_u32_e32 vcc, 0, v42
	v_cndmask_b32_e32 v4, 0, v4, vcc
	v_add_u32_e32 v43, v4, v43
	v_mad_u64_u32 v[4:5], s[0:1], v29, s60, 0
	v_mad_u64_u32 v[6:7], s[0:1], v42, s61, 0
	v_xor_b32_e32 v5, v5, v13
	v_xor_b32_e32 v7, v7, v12
	v_xor_b32_e32 v5, v43, v5
	v_xor_b32_e32 v7, v30, v7
	v_mad_u64_u32 v[10:11], s[0:1], v5, s61, 0
	v_mad_u64_u32 v[8:9], s[0:1], v7, s60, 0
	v_xor_b32_e32 v5, v28, v11
	v_xor_b32_e32 v5, v5, v6
	v_xor_b32_e32 v6, v31, v9
	v_xor_b32_e32 v6, v6, v4
	;; [unrolled: 6-line block ×10, first 2 shown]
	v_mov_b32_e32 v5, v10
	v_mov_b32_e32 v6, v11
	v_cmp_lt_i32_e32 vcc, 1, v18
	s_and_saveexec_b64 s[0:1], vcc
	s_xor_b64 s[0:1], exec, s[0:1]
	s_cbranch_execz .LBB11_15
; %bb.10:                               ;   in Loop: Header=BB11_9 Depth=1
	v_cmp_lt_i32_e32 vcc, 2, v18
	s_and_saveexec_b64 s[2:3], vcc
	s_xor_b64 s[2:3], exec, s[2:3]
; %bb.11:                               ;   in Loop: Header=BB11_9 Depth=1
	v_mov_b32_e32 v8, v3
	v_mov_b32_e32 v9, v4
	v_pk_mov_b32 v[0:1], v[8:9], v[8:9] op_sel:[0,1]
	v_pk_mov_b32 v[2:3], v[10:11], v[10:11] op_sel:[0,1]
                                        ; implicit-def: $vgpr10_vgpr11
; %bb.12:                               ;   in Loop: Header=BB11_9 Depth=1
	s_andn2_saveexec_b64 s[2:3], s[2:3]
; %bb.13:                               ;   in Loop: Header=BB11_9 Depth=1
	v_mov_b32_e32 v0, v2
	v_mov_b32_e32 v1, v3
	;; [unrolled: 1-line block ×4, first 2 shown]
; %bb.14:                               ;   in Loop: Header=BB11_9 Depth=1
	s_or_b64 exec, exec, s[2:3]
.LBB11_15:                              ;   in Loop: Header=BB11_9 Depth=1
	s_andn2_saveexec_b64 s[0:1], s[0:1]
	s_cbranch_execz .LBB11_19
; %bb.16:                               ;   in Loop: Header=BB11_9 Depth=1
	v_cmp_eq_u32_e32 vcc, 1, v18
	s_and_saveexec_b64 s[2:3], vcc
; %bb.17:                               ;   in Loop: Header=BB11_9 Depth=1
	v_mov_b32_e32 v0, v1
	v_mov_b32_e32 v1, v2
	;; [unrolled: 1-line block ×4, first 2 shown]
; %bb.18:                               ;   in Loop: Header=BB11_9 Depth=1
	s_or_b64 exec, exec, s[2:3]
.LBB11_19:                              ;   in Loop: Header=BB11_9 Depth=1
	s_or_b64 exec, exec, s[0:1]
	v_cndmask_b32_e64 v7, 0, 1, s[40:41]
	v_cmp_gt_i64_e32 vcc, s[24:25], v[14:15]
	v_cmp_ne_u32_e64 s[0:1], 1, v7
	s_and_saveexec_b64 s[2:3], vcc
	s_cbranch_execz .LBB11_35
; %bb.20:                               ;   in Loop: Header=BB11_9 Depth=1
	s_and_b64 vcc, exec, s[0:1]
	s_cbranch_vccnz .LBB11_26
; %bb.21:                               ;   in Loop: Header=BB11_9 Depth=1
	s_andn2_b64 vcc, exec, s[42:43]
	s_cbranch_vccnz .LBB11_27
; %bb.22:                               ;   in Loop: Header=BB11_9 Depth=1
	s_mov_b32 s6, 0
	s_andn2_b64 vcc, exec, s[30:31]
	v_mov_b32_e32 v8, 0
	s_cbranch_vccnz .LBB11_28
; %bb.23:                               ;   in Loop: Header=BB11_9 Depth=1
	s_mov_b32 s69, 0
	v_mov_b32_e32 v8, 0
	s_mov_b64 s[54:55], s[34:35]
	s_mov_b64 s[56:57], s[44:45]
	v_mov_b32_e32 v7, v14
.LBB11_24:                              ;   Parent Loop BB11_9 Depth=1
                                        ; =>  This Inner Loop Header: Depth=2
	s_load_dwordx8 s[16:23], s[54:55], 0x4
	s_load_dwordx4 s[4:7], s[54:55], 0x24
	s_load_dwordx4 s[36:39], s[56:57], 0x0
	s_add_u32 s54, s54, 48
	s_addc_u32 s55, s55, 0
	s_waitcnt lgkmcnt(0)
	v_mul_hi_u32 v9, s17, v7
	v_add_u32_e32 v9, v7, v9
	v_lshrrev_b32_e32 v9, s18, v9
	v_mul_lo_u32 v10, v9, s16
	v_mul_hi_u32 v11, s20, v9
	v_sub_u32_e32 v7, v7, v10
	v_add_u32_e32 v10, v9, v11
	v_lshrrev_b32_e32 v10, s21, v10
	v_mul_lo_u32 v11, v10, s19
	v_mul_hi_u32 v17, s23, v10
	v_sub_u32_e32 v9, v9, v11
	v_add_u32_e32 v11, v10, v17
	v_mul_lo_u32 v7, v7, s36
	v_mul_lo_u32 v9, v9, s37
	v_lshrrev_b32_e32 v11, s4, v11
	v_add3_u32 v8, v7, v8, v9
	v_mul_lo_u32 v7, v11, s22
	v_mul_hi_u32 v9, s6, v11
	v_sub_u32_e32 v7, v10, v7
	v_add_u32_e32 v9, v11, v9
	v_mul_lo_u32 v10, v7, s38
	v_lshrrev_b32_e32 v7, s7, v9
	s_add_i32 s69, s69, 4
	v_mul_lo_u32 v9, v7, s5
	s_add_u32 s56, s56, 16
	v_sub_u32_e32 v9, v11, v9
	s_addc_u32 s57, s57, 0
	v_mul_lo_u32 v9, v9, s39
	s_cmp_lg_u32 s65, s69
	v_add3_u32 v8, v10, v8, v9
	s_cbranch_scc1 .LBB11_24
; %bb.25:                               ;   in Loop: Header=BB11_9 Depth=1
	s_mov_b32 s6, s65
	s_andn2_b64 vcc, exec, s[52:53]
	s_cbranch_vccz .LBB11_29
	s_branch .LBB11_31
.LBB11_26:                              ;   in Loop: Header=BB11_9 Depth=1
                                        ; implicit-def: $vgpr8
	s_branch .LBB11_32
.LBB11_27:                              ;   in Loop: Header=BB11_9 Depth=1
	v_mov_b32_e32 v8, 0
	s_branch .LBB11_31
.LBB11_28:                              ;   in Loop: Header=BB11_9 Depth=1
	v_mov_b32_e32 v7, v14
	s_andn2_b64 vcc, exec, s[52:53]
	s_cbranch_vccnz .LBB11_31
.LBB11_29:                              ;   in Loop: Header=BB11_9 Depth=1
	s_lshl_b32 s4, s6, 2
	s_add_u32 s4, s44, s4
	s_addc_u32 s5, s45, 0
	s_mul_i32 s6, s6, 12
	s_add_u32 s6, s34, s6
	s_addc_u32 s7, s35, 0
	s_mov_b32 s16, s64
.LBB11_30:                              ;   Parent Loop BB11_9 Depth=1
                                        ; =>  This Inner Loop Header: Depth=2
	s_load_dwordx2 s[18:19], s[6:7], 0x4
	s_load_dword s17, s[6:7], 0xc
	s_load_dword s20, s[4:5], 0x0
	s_add_u32 s6, s6, 12
	s_addc_u32 s7, s7, 0
	s_waitcnt lgkmcnt(0)
	v_mul_hi_u32 v9, s19, v7
	v_add_u32_e32 v9, v7, v9
	v_lshrrev_b32_e32 v9, s17, v9
	s_add_u32 s4, s4, 4
	v_mul_lo_u32 v10, v9, s18
	s_addc_u32 s5, s5, 0
	s_add_i32 s16, s16, -1
	v_sub_u32_e32 v10, v7, v10
	s_cmp_lg_u32 s16, 0
	v_mov_b32_e32 v7, v9
	v_mad_u64_u32 v[8:9], s[18:19], v10, s20, v[8:9]
	s_cbranch_scc1 .LBB11_30
.LBB11_31:                              ;   in Loop: Header=BB11_9 Depth=1
	s_cbranch_execnz .LBB11_34
.LBB11_32:                              ;   in Loop: Header=BB11_9 Depth=1
	v_mul_hi_u32 v7, v14, s10
	v_add_u32_e32 v7, v7, v14
	v_lshrrev_b32_e32 v7, s11, v7
	v_mul_lo_u32 v8, v7, s9
	v_sub_u32_e32 v8, v14, v8
	s_andn2_b64 vcc, exec, s[48:49]
	v_mul_lo_u32 v8, v8, s46
	s_cbranch_vccnz .LBB11_34
; %bb.33:                               ;   in Loop: Header=BB11_9 Depth=1
	v_mul_hi_u32 v9, s8, v7
	v_add_u32_e32 v9, v7, v9
	v_lshrrev_b32_e32 v9, s14, v9
	v_mul_lo_u32 v9, v9, s12
	v_sub_u32_e32 v7, v7, v9
	v_mad_u64_u32 v[8:9], s[4:5], v7, s47, v[8:9]
.LBB11_34:                              ;   in Loop: Header=BB11_9 Depth=1
	v_cvt_f32_u32_e32 v0, v0
	v_mov_b32_e32 v7, 0x2f800000
	v_fmac_f32_e32 v7, 0x2f800000, v0
	v_cmp_gt_f32_e32 vcc, s66, v7
	v_cndmask_b32_e32 v0, 1.0, v40, vcc
	v_mul_f32_e32 v0, v7, v0
	v_log_f32_e32 v0, v0
	v_cndmask_b32_e32 v7, 0, v41, vcc
	v_mul_f32_e32 v9, 0x3f317217, v0
	v_fma_f32 v10, v0, s67, -v9
	v_fmac_f32_e32 v10, 0x3377d1cf, v0
	v_add_f32_e32 v9, v9, v10
	v_cmp_lt_f32_e64 vcc, |v0|, s68
	v_cndmask_b32_e32 v0, v0, v9, vcc
	v_sub_f32_e32 v0, v0, v7
	v_div_scale_f32 v7, s[4:5], v39, v39, v0
	v_rcp_f32_e32 v9, v7
	v_div_scale_f32 v10, vcc, v0, v39, v0
	v_fma_f32 v11, -v7, v9, 1.0
	v_fmac_f32_e32 v9, v11, v9
	v_mul_f32_e32 v11, v10, v9
	v_fma_f32 v17, -v7, v11, v10
	v_fmac_f32_e32 v11, v17, v9
	v_fma_f32 v7, -v7, v11, v10
	v_div_fmas_f32 v7, v7, v9, v11
	v_div_fixup_f32 v0, v7, v39, v0
	v_ceil_f32_e32 v0, v0
	v_cvt_i32_f32_e32 v0, v0
	global_store_dword v8, v0, s[28:29]
.LBB11_35:                              ;   in Loop: Header=BB11_9 Depth=1
	s_or_b64 exec, exec, s[2:3]
	v_mov_b32_e32 v0, s59
	v_add_co_u32_e32 v10, vcc, s33, v14
	v_addc_co_u32_e32 v11, vcc, v15, v0, vcc
	v_cmp_gt_i64_e32 vcc, s[24:25], v[10:11]
	s_and_saveexec_b64 s[2:3], vcc
	s_cbranch_execz .LBB11_51
; %bb.36:                               ;   in Loop: Header=BB11_9 Depth=1
	s_and_b64 vcc, exec, s[0:1]
	s_cbranch_vccnz .LBB11_42
; %bb.37:                               ;   in Loop: Header=BB11_9 Depth=1
	s_andn2_b64 vcc, exec, s[42:43]
	s_cbranch_vccnz .LBB11_43
; %bb.38:                               ;   in Loop: Header=BB11_9 Depth=1
	s_mov_b32 s6, 0
	s_andn2_b64 vcc, exec, s[30:31]
	v_mov_b32_e32 v8, 0
	s_cbranch_vccnz .LBB11_44
; %bb.39:                               ;   in Loop: Header=BB11_9 Depth=1
	s_mov_b32 s69, 0
	v_mov_b32_e32 v8, 0
	s_mov_b64 s[54:55], s[34:35]
	s_mov_b64 s[56:57], s[44:45]
	v_mov_b32_e32 v0, v10
.LBB11_40:                              ;   Parent Loop BB11_9 Depth=1
                                        ; =>  This Inner Loop Header: Depth=2
	s_load_dwordx8 s[16:23], s[54:55], 0x4
	s_load_dwordx4 s[4:7], s[54:55], 0x24
	s_load_dwordx4 s[36:39], s[56:57], 0x0
	s_add_u32 s54, s54, 48
	s_addc_u32 s55, s55, 0
	s_waitcnt lgkmcnt(0)
	v_mul_hi_u32 v7, s17, v0
	v_add_u32_e32 v7, v0, v7
	v_lshrrev_b32_e32 v7, s18, v7
	v_mul_lo_u32 v9, v7, s16
	v_mul_hi_u32 v11, s20, v7
	v_sub_u32_e32 v0, v0, v9
	v_add_u32_e32 v9, v7, v11
	v_lshrrev_b32_e32 v9, s21, v9
	v_mul_lo_u32 v11, v9, s19
	v_mul_hi_u32 v17, s23, v9
	v_sub_u32_e32 v7, v7, v11
	v_add_u32_e32 v11, v9, v17
	v_mul_lo_u32 v0, v0, s36
	v_mul_lo_u32 v7, v7, s37
	v_lshrrev_b32_e32 v11, s4, v11
	v_add3_u32 v7, v0, v8, v7
	v_mul_lo_u32 v0, v11, s22
	v_mul_hi_u32 v8, s6, v11
	v_sub_u32_e32 v0, v9, v0
	v_add_u32_e32 v8, v11, v8
	v_mul_lo_u32 v9, v0, s38
	v_lshrrev_b32_e32 v0, s7, v8
	s_add_i32 s69, s69, 4
	v_mul_lo_u32 v8, v0, s5
	s_add_u32 s56, s56, 16
	v_sub_u32_e32 v8, v11, v8
	s_addc_u32 s57, s57, 0
	v_mul_lo_u32 v8, v8, s39
	s_cmp_eq_u32 s65, s69
	v_add3_u32 v8, v9, v7, v8
	s_cbranch_scc0 .LBB11_40
; %bb.41:                               ;   in Loop: Header=BB11_9 Depth=1
	s_mov_b32 s6, s65
	s_andn2_b64 vcc, exec, s[52:53]
	s_cbranch_vccz .LBB11_45
	s_branch .LBB11_47
.LBB11_42:                              ;   in Loop: Header=BB11_9 Depth=1
                                        ; implicit-def: $vgpr8
	s_branch .LBB11_48
.LBB11_43:                              ;   in Loop: Header=BB11_9 Depth=1
	v_mov_b32_e32 v8, 0
	s_branch .LBB11_47
.LBB11_44:                              ;   in Loop: Header=BB11_9 Depth=1
	v_mov_b32_e32 v0, v10
	s_andn2_b64 vcc, exec, s[52:53]
	s_cbranch_vccnz .LBB11_47
.LBB11_45:                              ;   in Loop: Header=BB11_9 Depth=1
	s_lshl_b32 s4, s6, 2
	s_add_u32 s4, s44, s4
	s_addc_u32 s5, s45, 0
	s_mul_i32 s6, s6, 12
	s_add_u32 s6, s34, s6
	s_addc_u32 s7, s35, 0
	s_mov_b32 s16, s64
.LBB11_46:                              ;   Parent Loop BB11_9 Depth=1
                                        ; =>  This Inner Loop Header: Depth=2
	s_load_dwordx2 s[18:19], s[6:7], 0x4
	s_load_dword s17, s[6:7], 0xc
	s_load_dword s20, s[4:5], 0x0
	s_add_u32 s6, s6, 12
	s_addc_u32 s7, s7, 0
	s_waitcnt lgkmcnt(0)
	v_mul_hi_u32 v7, s19, v0
	v_add_u32_e32 v7, v0, v7
	v_lshrrev_b32_e32 v7, s17, v7
	s_add_u32 s4, s4, 4
	v_mul_lo_u32 v9, v7, s18
	s_addc_u32 s5, s5, 0
	s_add_i32 s16, s16, -1
	v_sub_u32_e32 v9, v0, v9
	s_cmp_lg_u32 s16, 0
	v_mov_b32_e32 v0, v7
	v_mad_u64_u32 v[8:9], s[18:19], v9, s20, v[8:9]
	s_cbranch_scc1 .LBB11_46
.LBB11_47:                              ;   in Loop: Header=BB11_9 Depth=1
	s_cbranch_execnz .LBB11_50
.LBB11_48:                              ;   in Loop: Header=BB11_9 Depth=1
	v_mul_hi_u32 v0, v10, s10
	v_add_u32_e32 v0, v0, v10
	v_lshrrev_b32_e32 v0, s11, v0
	v_mul_lo_u32 v7, v0, s9
	v_sub_u32_e32 v7, v10, v7
	s_andn2_b64 vcc, exec, s[48:49]
	v_mul_lo_u32 v8, v7, s46
	s_cbranch_vccnz .LBB11_50
; %bb.49:                               ;   in Loop: Header=BB11_9 Depth=1
	v_mul_hi_u32 v7, s8, v0
	v_add_u32_e32 v7, v0, v7
	v_lshrrev_b32_e32 v7, s14, v7
	v_mul_lo_u32 v7, v7, s12
	v_sub_u32_e32 v0, v0, v7
	v_mad_u64_u32 v[8:9], s[4:5], v0, s47, v[8:9]
.LBB11_50:                              ;   in Loop: Header=BB11_9 Depth=1
	v_cvt_f32_u32_e32 v0, v1
	v_mov_b32_e32 v1, 0x2f800000
	v_fmac_f32_e32 v1, 0x2f800000, v0
	v_cmp_gt_f32_e32 vcc, s66, v1
	v_cndmask_b32_e32 v0, 1.0, v40, vcc
	v_mul_f32_e32 v0, v1, v0
	v_log_f32_e32 v0, v0
	v_cndmask_b32_e32 v1, 0, v41, vcc
	v_mul_f32_e32 v7, 0x3f317217, v0
	v_fma_f32 v9, v0, s67, -v7
	v_fmac_f32_e32 v9, 0x3377d1cf, v0
	v_add_f32_e32 v7, v7, v9
	v_cmp_lt_f32_e64 vcc, |v0|, s68
	v_cndmask_b32_e32 v0, v0, v7, vcc
	v_sub_f32_e32 v0, v0, v1
	v_div_scale_f32 v1, s[4:5], v39, v39, v0
	v_rcp_f32_e32 v7, v1
	v_div_scale_f32 v9, vcc, v0, v39, v0
	v_fma_f32 v10, -v1, v7, 1.0
	v_fmac_f32_e32 v7, v10, v7
	v_mul_f32_e32 v10, v9, v7
	v_fma_f32 v11, -v1, v10, v9
	v_fmac_f32_e32 v10, v11, v7
	v_fma_f32 v1, -v1, v10, v9
	v_div_fmas_f32 v1, v1, v7, v10
	v_div_fixup_f32 v0, v1, v39, v0
	v_ceil_f32_e32 v0, v0
	v_cvt_i32_f32_e32 v0, v0
	global_store_dword v8, v0, s[28:29]
.LBB11_51:                              ;   in Loop: Header=BB11_9 Depth=1
	s_or_b64 exec, exec, s[2:3]
	v_mov_b32_e32 v0, s15
	v_add_co_u32_e32 v8, vcc, s13, v14
	v_addc_co_u32_e32 v9, vcc, v15, v0, vcc
	v_cmp_gt_i64_e32 vcc, s[24:25], v[8:9]
	s_and_saveexec_b64 s[2:3], vcc
	s_cbranch_execz .LBB11_67
; %bb.52:                               ;   in Loop: Header=BB11_9 Depth=1
	s_and_b64 vcc, exec, s[0:1]
	s_cbranch_vccnz .LBB11_58
; %bb.53:                               ;   in Loop: Header=BB11_9 Depth=1
	s_andn2_b64 vcc, exec, s[42:43]
	s_cbranch_vccnz .LBB11_59
; %bb.54:                               ;   in Loop: Header=BB11_9 Depth=1
	s_mov_b32 s6, 0
	s_andn2_b64 vcc, exec, s[30:31]
	v_mov_b32_e32 v0, 0
	s_cbranch_vccnz .LBB11_60
; %bb.55:                               ;   in Loop: Header=BB11_9 Depth=1
	s_mov_b32 s69, 0
	v_mov_b32_e32 v0, 0
	s_mov_b64 s[54:55], s[34:35]
	s_mov_b64 s[56:57], s[44:45]
	v_mov_b32_e32 v7, v8
.LBB11_56:                              ;   Parent Loop BB11_9 Depth=1
                                        ; =>  This Inner Loop Header: Depth=2
	s_load_dwordx8 s[16:23], s[54:55], 0x4
	s_load_dwordx4 s[4:7], s[54:55], 0x24
	s_load_dwordx4 s[36:39], s[56:57], 0x0
	s_add_u32 s54, s54, 48
	s_addc_u32 s55, s55, 0
	s_waitcnt lgkmcnt(0)
	v_mul_hi_u32 v1, s17, v7
	v_add_u32_e32 v1, v7, v1
	v_lshrrev_b32_e32 v1, s18, v1
	v_mul_lo_u32 v9, v1, s16
	v_mul_hi_u32 v10, s20, v1
	v_sub_u32_e32 v7, v7, v9
	v_add_u32_e32 v9, v1, v10
	v_lshrrev_b32_e32 v9, s21, v9
	v_mul_lo_u32 v10, v9, s19
	v_mul_hi_u32 v11, s23, v9
	v_sub_u32_e32 v1, v1, v10
	v_add_u32_e32 v10, v9, v11
	v_mul_lo_u32 v7, v7, s36
	v_mul_lo_u32 v1, v1, s37
	v_lshrrev_b32_e32 v10, s4, v10
	v_add3_u32 v0, v7, v0, v1
	v_mul_hi_u32 v7, s6, v10
	v_add_u32_e32 v7, v10, v7
	v_mul_lo_u32 v1, v10, s22
	v_lshrrev_b32_e32 v7, s7, v7
	s_add_i32 s69, s69, 4
	v_sub_u32_e32 v1, v9, v1
	v_mul_lo_u32 v9, v7, s5
	s_add_u32 s56, s56, 16
	v_sub_u32_e32 v9, v10, v9
	s_addc_u32 s57, s57, 0
	v_mul_lo_u32 v1, v1, s38
	v_mul_lo_u32 v9, v9, s39
	s_cmp_eq_u32 s65, s69
	v_add3_u32 v0, v1, v0, v9
	s_cbranch_scc0 .LBB11_56
; %bb.57:                               ;   in Loop: Header=BB11_9 Depth=1
	s_mov_b32 s6, s65
	s_andn2_b64 vcc, exec, s[52:53]
	s_cbranch_vccz .LBB11_61
	s_branch .LBB11_63
.LBB11_58:                              ;   in Loop: Header=BB11_9 Depth=1
                                        ; implicit-def: $vgpr0
	s_branch .LBB11_64
.LBB11_59:                              ;   in Loop: Header=BB11_9 Depth=1
	v_mov_b32_e32 v0, 0
	s_branch .LBB11_63
.LBB11_60:                              ;   in Loop: Header=BB11_9 Depth=1
	v_mov_b32_e32 v7, v8
	s_andn2_b64 vcc, exec, s[52:53]
	s_cbranch_vccnz .LBB11_63
.LBB11_61:                              ;   in Loop: Header=BB11_9 Depth=1
	s_lshl_b32 s4, s6, 2
	s_add_u32 s4, s44, s4
	s_addc_u32 s5, s45, 0
	s_mul_i32 s6, s6, 12
	s_add_u32 s6, s34, s6
	s_addc_u32 s7, s35, 0
	s_mov_b32 s16, s64
.LBB11_62:                              ;   Parent Loop BB11_9 Depth=1
                                        ; =>  This Inner Loop Header: Depth=2
	s_load_dwordx2 s[18:19], s[6:7], 0x4
	s_load_dword s17, s[6:7], 0xc
	s_load_dword s20, s[4:5], 0x0
	s_add_u32 s6, s6, 12
	s_addc_u32 s7, s7, 0
	s_waitcnt lgkmcnt(0)
	v_mul_hi_u32 v1, s19, v7
	v_add_u32_e32 v1, v7, v1
	v_lshrrev_b32_e32 v1, s17, v1
	s_add_u32 s4, s4, 4
	v_mul_lo_u32 v9, v1, s18
	s_addc_u32 s5, s5, 0
	s_add_i32 s16, s16, -1
	v_sub_u32_e32 v9, v7, v9
	s_cmp_lg_u32 s16, 0
	v_mov_b32_e32 v7, v1
	v_mad_u64_u32 v[0:1], s[18:19], v9, s20, v[0:1]
	s_cbranch_scc1 .LBB11_62
.LBB11_63:                              ;   in Loop: Header=BB11_9 Depth=1
	s_cbranch_execnz .LBB11_66
.LBB11_64:                              ;   in Loop: Header=BB11_9 Depth=1
	v_mul_hi_u32 v0, v8, s10
	v_add_u32_e32 v0, v0, v8
	v_lshrrev_b32_e32 v1, s11, v0
	v_mul_lo_u32 v0, v1, s9
	v_sub_u32_e32 v0, v8, v0
	s_andn2_b64 vcc, exec, s[48:49]
	v_mul_lo_u32 v0, v0, s46
	s_cbranch_vccnz .LBB11_66
; %bb.65:                               ;   in Loop: Header=BB11_9 Depth=1
	v_mul_hi_u32 v7, s8, v1
	v_add_u32_e32 v7, v1, v7
	v_lshrrev_b32_e32 v7, s14, v7
	v_mul_lo_u32 v7, v7, s12
	v_sub_u32_e32 v1, v1, v7
	v_mad_u64_u32 v[0:1], s[4:5], v1, s47, v[0:1]
.LBB11_66:                              ;   in Loop: Header=BB11_9 Depth=1
	v_cvt_f32_u32_e32 v1, v2
	v_mov_b32_e32 v2, 0x2f800000
	v_fmac_f32_e32 v2, 0x2f800000, v1
	v_cmp_gt_f32_e32 vcc, s66, v2
	v_cndmask_b32_e32 v1, 1.0, v40, vcc
	v_mul_f32_e32 v1, v2, v1
	v_log_f32_e32 v1, v1
	v_cndmask_b32_e32 v2, 0, v41, vcc
	v_mul_f32_e32 v7, 0x3f317217, v1
	v_fma_f32 v8, v1, s67, -v7
	v_fmac_f32_e32 v8, 0x3377d1cf, v1
	v_add_f32_e32 v7, v7, v8
	v_cmp_lt_f32_e64 vcc, |v1|, s68
	v_cndmask_b32_e32 v1, v1, v7, vcc
	v_sub_f32_e32 v1, v1, v2
	v_div_scale_f32 v2, s[4:5], v39, v39, v1
	v_rcp_f32_e32 v7, v2
	v_div_scale_f32 v8, vcc, v1, v39, v1
	v_fma_f32 v9, -v2, v7, 1.0
	v_fmac_f32_e32 v7, v9, v7
	v_mul_f32_e32 v9, v8, v7
	v_fma_f32 v10, -v2, v9, v8
	v_fmac_f32_e32 v9, v10, v7
	v_fma_f32 v2, -v2, v9, v8
	v_div_fmas_f32 v2, v2, v7, v9
	v_div_fixup_f32 v1, v2, v39, v1
	v_ceil_f32_e32 v1, v1
	v_cvt_i32_f32_e32 v1, v1
	global_store_dword v0, v1, s[28:29]
.LBB11_67:                              ;   in Loop: Header=BB11_9 Depth=1
	s_or_b64 exec, exec, s[2:3]
	v_mov_b32_e32 v0, s63
	v_add_co_u32_e32 v8, vcc, s62, v14
	v_addc_co_u32_e32 v9, vcc, v15, v0, vcc
	v_cmp_gt_i64_e32 vcc, s[24:25], v[8:9]
	s_and_saveexec_b64 s[36:37], vcc
	s_cbranch_execz .LBB11_8
; %bb.68:                               ;   in Loop: Header=BB11_9 Depth=1
	s_and_b64 vcc, exec, s[0:1]
	s_cbranch_vccnz .LBB11_74
; %bb.69:                               ;   in Loop: Header=BB11_9 Depth=1
	s_andn2_b64 vcc, exec, s[42:43]
	s_cbranch_vccnz .LBB11_75
; %bb.70:                               ;   in Loop: Header=BB11_9 Depth=1
	s_mov_b32 s2, 0
	s_andn2_b64 vcc, exec, s[30:31]
	v_mov_b32_e32 v0, 0
	s_cbranch_vccnz .LBB11_76
; %bb.71:                               ;   in Loop: Header=BB11_9 Depth=1
	s_mov_b32 s56, 0
	v_mov_b32_e32 v0, 0
	s_mov_b64 s[38:39], s[34:35]
	s_mov_b64 s[54:55], s[44:45]
	v_mov_b32_e32 v2, v8
.LBB11_72:                              ;   Parent Loop BB11_9 Depth=1
                                        ; =>  This Inner Loop Header: Depth=2
	s_load_dwordx8 s[0:7], s[38:39], 0x4
	s_load_dwordx4 s[16:19], s[38:39], 0x24
	s_load_dwordx4 s[20:23], s[54:55], 0x0
	s_add_u32 s38, s38, 48
	s_addc_u32 s39, s39, 0
	s_waitcnt lgkmcnt(0)
	v_mul_hi_u32 v1, s1, v2
	v_add_u32_e32 v1, v2, v1
	v_lshrrev_b32_e32 v1, s2, v1
	v_mul_lo_u32 v7, v1, s0
	v_mul_hi_u32 v9, s4, v1
	v_sub_u32_e32 v2, v2, v7
	v_add_u32_e32 v7, v1, v9
	v_lshrrev_b32_e32 v7, s5, v7
	v_mul_lo_u32 v9, v7, s3
	v_mul_hi_u32 v10, s7, v7
	v_sub_u32_e32 v1, v1, v9
	v_add_u32_e32 v9, v7, v10
	v_mul_lo_u32 v2, v2, s20
	v_mul_lo_u32 v1, v1, s21
	v_lshrrev_b32_e32 v9, s16, v9
	v_add3_u32 v0, v2, v0, v1
	v_mul_hi_u32 v2, s18, v9
	v_add_u32_e32 v2, v9, v2
	v_mul_lo_u32 v1, v9, s6
	v_lshrrev_b32_e32 v2, s19, v2
	s_add_i32 s56, s56, 4
	v_sub_u32_e32 v1, v7, v1
	v_mul_lo_u32 v7, v2, s17
	s_add_u32 s54, s54, 16
	v_sub_u32_e32 v7, v9, v7
	s_addc_u32 s55, s55, 0
	v_mul_lo_u32 v1, v1, s22
	v_mul_lo_u32 v7, v7, s23
	s_cmp_eq_u32 s65, s56
	v_add3_u32 v0, v1, v0, v7
	s_cbranch_scc0 .LBB11_72
; %bb.73:                               ;   in Loop: Header=BB11_9 Depth=1
	s_mov_b32 s2, s65
	s_andn2_b64 vcc, exec, s[52:53]
	s_cbranch_vccz .LBB11_77
	s_branch .LBB11_79
.LBB11_74:                              ;   in Loop: Header=BB11_9 Depth=1
                                        ; implicit-def: $vgpr0
	s_branch .LBB11_80
.LBB11_75:                              ;   in Loop: Header=BB11_9 Depth=1
	v_mov_b32_e32 v0, 0
	s_branch .LBB11_79
.LBB11_76:                              ;   in Loop: Header=BB11_9 Depth=1
	v_mov_b32_e32 v2, v8
	s_andn2_b64 vcc, exec, s[52:53]
	s_cbranch_vccnz .LBB11_79
.LBB11_77:                              ;   in Loop: Header=BB11_9 Depth=1
	s_lshl_b32 s0, s2, 2
	s_add_u32 s0, s44, s0
	s_addc_u32 s1, s45, 0
	s_mul_i32 s2, s2, 12
	s_add_u32 s2, s34, s2
	s_addc_u32 s3, s35, 0
	s_mov_b32 s4, s64
.LBB11_78:                              ;   Parent Loop BB11_9 Depth=1
                                        ; =>  This Inner Loop Header: Depth=2
	s_load_dwordx2 s[6:7], s[2:3], 0x4
	s_load_dword s5, s[2:3], 0xc
	s_load_dword s16, s[0:1], 0x0
	s_add_u32 s2, s2, 12
	s_addc_u32 s3, s3, 0
	s_waitcnt lgkmcnt(0)
	v_mul_hi_u32 v1, s7, v2
	v_add_u32_e32 v1, v2, v1
	v_lshrrev_b32_e32 v1, s5, v1
	s_add_u32 s0, s0, 4
	v_mul_lo_u32 v7, v1, s6
	s_addc_u32 s1, s1, 0
	s_add_i32 s4, s4, -1
	v_sub_u32_e32 v7, v2, v7
	s_cmp_lg_u32 s4, 0
	v_mov_b32_e32 v2, v1
	v_mad_u64_u32 v[0:1], s[6:7], v7, s16, v[0:1]
	s_cbranch_scc1 .LBB11_78
.LBB11_79:                              ;   in Loop: Header=BB11_9 Depth=1
	s_cbranch_execnz .LBB11_7
.LBB11_80:                              ;   in Loop: Header=BB11_9 Depth=1
	v_mul_hi_u32 v0, v8, s10
	v_add_u32_e32 v0, v0, v8
	v_lshrrev_b32_e32 v1, s11, v0
	v_mul_lo_u32 v0, v1, s9
	v_sub_u32_e32 v0, v8, v0
	s_andn2_b64 vcc, exec, s[48:49]
	v_mul_lo_u32 v0, v0, s46
	s_cbranch_vccnz .LBB11_7
; %bb.81:                               ;   in Loop: Header=BB11_9 Depth=1
	v_mul_hi_u32 v2, s8, v1
	v_add_u32_e32 v2, v1, v2
	v_lshrrev_b32_e32 v2, s14, v2
	v_mul_lo_u32 v2, v2, s12
	v_sub_u32_e32 v1, v1, v2
	v_mad_u64_u32 v[0:1], s[0:1], v1, s47, v[0:1]
	s_branch .LBB11_7
.LBB11_82:
	s_endpgm
.LBB11_83:
                                        ; implicit-def: $sgpr2_sgpr3
	s_andn2_b64 vcc, exec, s[0:1]
	s_cbranch_vccz .LBB11_4
	s_branch .LBB11_5
	.section	.rodata,"a",@progbits
	.p2align	6, 0x0
	.amdhsa_kernel _ZN2at6native12_GLOBAL__N_143distribution_elementwise_grid_stride_kernelIfLi4EZNS0_9templates4cuda21uniform_and_transformIifPNS_17CUDAGeneratorImplEZZZNS4_16geometric_kernelIS7_EEvRNS_18TensorIteratorBaseEdT_ENKUlvE_clEvENKUlvE1_clEvEUlfE_EEvSA_T1_T2_EUlP25hiprandStatePhilox4_32_10E0_ZNS1_27distribution_nullary_kernelIif15HIP_vector_typeIfLj4EES7_SJ_SE_EEvSA_SG_RKT3_T4_EUlifE0_EEvlNS_15PhiloxCudaStateESF_SG_
		.amdhsa_group_segment_fixed_size 0
		.amdhsa_private_segment_fixed_size 0
		.amdhsa_kernarg_size 584
		.amdhsa_user_sgpr_count 6
		.amdhsa_user_sgpr_private_segment_buffer 1
		.amdhsa_user_sgpr_dispatch_ptr 0
		.amdhsa_user_sgpr_queue_ptr 0
		.amdhsa_user_sgpr_kernarg_segment_ptr 1
		.amdhsa_user_sgpr_dispatch_id 0
		.amdhsa_user_sgpr_flat_scratch_init 0
		.amdhsa_user_sgpr_kernarg_preload_length 0
		.amdhsa_user_sgpr_kernarg_preload_offset 0
		.amdhsa_user_sgpr_private_segment_size 0
		.amdhsa_uses_dynamic_stack 0
		.amdhsa_system_sgpr_private_segment_wavefront_offset 0
		.amdhsa_system_sgpr_workgroup_id_x 1
		.amdhsa_system_sgpr_workgroup_id_y 0
		.amdhsa_system_sgpr_workgroup_id_z 0
		.amdhsa_system_sgpr_workgroup_info 0
		.amdhsa_system_vgpr_workitem_id 0
		.amdhsa_next_free_vgpr 44
		.amdhsa_next_free_sgpr 70
		.amdhsa_accum_offset 44
		.amdhsa_reserve_vcc 1
		.amdhsa_reserve_flat_scratch 0
		.amdhsa_float_round_mode_32 0
		.amdhsa_float_round_mode_16_64 0
		.amdhsa_float_denorm_mode_32 3
		.amdhsa_float_denorm_mode_16_64 3
		.amdhsa_dx10_clamp 1
		.amdhsa_ieee_mode 1
		.amdhsa_fp16_overflow 0
		.amdhsa_tg_split 0
		.amdhsa_exception_fp_ieee_invalid_op 0
		.amdhsa_exception_fp_denorm_src 0
		.amdhsa_exception_fp_ieee_div_zero 0
		.amdhsa_exception_fp_ieee_overflow 0
		.amdhsa_exception_fp_ieee_underflow 0
		.amdhsa_exception_fp_ieee_inexact 0
		.amdhsa_exception_int_div_zero 0
	.end_amdhsa_kernel
	.section	.text._ZN2at6native12_GLOBAL__N_143distribution_elementwise_grid_stride_kernelIfLi4EZNS0_9templates4cuda21uniform_and_transformIifPNS_17CUDAGeneratorImplEZZZNS4_16geometric_kernelIS7_EEvRNS_18TensorIteratorBaseEdT_ENKUlvE_clEvENKUlvE1_clEvEUlfE_EEvSA_T1_T2_EUlP25hiprandStatePhilox4_32_10E0_ZNS1_27distribution_nullary_kernelIif15HIP_vector_typeIfLj4EES7_SJ_SE_EEvSA_SG_RKT3_T4_EUlifE0_EEvlNS_15PhiloxCudaStateESF_SG_,"axG",@progbits,_ZN2at6native12_GLOBAL__N_143distribution_elementwise_grid_stride_kernelIfLi4EZNS0_9templates4cuda21uniform_and_transformIifPNS_17CUDAGeneratorImplEZZZNS4_16geometric_kernelIS7_EEvRNS_18TensorIteratorBaseEdT_ENKUlvE_clEvENKUlvE1_clEvEUlfE_EEvSA_T1_T2_EUlP25hiprandStatePhilox4_32_10E0_ZNS1_27distribution_nullary_kernelIif15HIP_vector_typeIfLj4EES7_SJ_SE_EEvSA_SG_RKT3_T4_EUlifE0_EEvlNS_15PhiloxCudaStateESF_SG_,comdat
.Lfunc_end11:
	.size	_ZN2at6native12_GLOBAL__N_143distribution_elementwise_grid_stride_kernelIfLi4EZNS0_9templates4cuda21uniform_and_transformIifPNS_17CUDAGeneratorImplEZZZNS4_16geometric_kernelIS7_EEvRNS_18TensorIteratorBaseEdT_ENKUlvE_clEvENKUlvE1_clEvEUlfE_EEvSA_T1_T2_EUlP25hiprandStatePhilox4_32_10E0_ZNS1_27distribution_nullary_kernelIif15HIP_vector_typeIfLj4EES7_SJ_SE_EEvSA_SG_RKT3_T4_EUlifE0_EEvlNS_15PhiloxCudaStateESF_SG_, .Lfunc_end11-_ZN2at6native12_GLOBAL__N_143distribution_elementwise_grid_stride_kernelIfLi4EZNS0_9templates4cuda21uniform_and_transformIifPNS_17CUDAGeneratorImplEZZZNS4_16geometric_kernelIS7_EEvRNS_18TensorIteratorBaseEdT_ENKUlvE_clEvENKUlvE1_clEvEUlfE_EEvSA_T1_T2_EUlP25hiprandStatePhilox4_32_10E0_ZNS1_27distribution_nullary_kernelIif15HIP_vector_typeIfLj4EES7_SJ_SE_EEvSA_SG_RKT3_T4_EUlifE0_EEvlNS_15PhiloxCudaStateESF_SG_
                                        ; -- End function
	.section	.AMDGPU.csdata,"",@progbits
; Kernel info:
; codeLenInByte = 5568
; NumSgprs: 74
; NumVgprs: 44
; NumAgprs: 0
; TotalNumVgprs: 44
; ScratchSize: 0
; MemoryBound: 0
; FloatMode: 240
; IeeeMode: 1
; LDSByteSize: 0 bytes/workgroup (compile time only)
; SGPRBlocks: 9
; VGPRBlocks: 5
; NumSGPRsForWavesPerEU: 74
; NumVGPRsForWavesPerEU: 44
; AccumOffset: 44
; Occupancy: 8
; WaveLimiterHint : 1
; COMPUTE_PGM_RSRC2:SCRATCH_EN: 0
; COMPUTE_PGM_RSRC2:USER_SGPR: 6
; COMPUTE_PGM_RSRC2:TRAP_HANDLER: 0
; COMPUTE_PGM_RSRC2:TGID_X_EN: 1
; COMPUTE_PGM_RSRC2:TGID_Y_EN: 0
; COMPUTE_PGM_RSRC2:TGID_Z_EN: 0
; COMPUTE_PGM_RSRC2:TIDIG_COMP_CNT: 0
; COMPUTE_PGM_RSRC3_GFX90A:ACCUM_OFFSET: 10
; COMPUTE_PGM_RSRC3_GFX90A:TG_SPLIT: 0
	.section	.text._ZN2at6native12_GLOBAL__N_143distribution_elementwise_grid_stride_kernelIfLi4EZNS0_9templates4cuda21uniform_and_transformIlfPNS_17CUDAGeneratorImplEZZZNS4_16geometric_kernelIS7_EEvRNS_18TensorIteratorBaseEdT_ENKUlvE_clEvENKUlvE2_clEvEUlfE_EEvSA_T1_T2_EUlP25hiprandStatePhilox4_32_10E_ZNS1_27distribution_nullary_kernelIlf15HIP_vector_typeIdLj2EES7_SJ_SE_EEvSA_SG_RKT3_T4_EUlifE_EEvlNS_15PhiloxCudaStateESF_SG_,"axG",@progbits,_ZN2at6native12_GLOBAL__N_143distribution_elementwise_grid_stride_kernelIfLi4EZNS0_9templates4cuda21uniform_and_transformIlfPNS_17CUDAGeneratorImplEZZZNS4_16geometric_kernelIS7_EEvRNS_18TensorIteratorBaseEdT_ENKUlvE_clEvENKUlvE2_clEvEUlfE_EEvSA_T1_T2_EUlP25hiprandStatePhilox4_32_10E_ZNS1_27distribution_nullary_kernelIlf15HIP_vector_typeIdLj2EES7_SJ_SE_EEvSA_SG_RKT3_T4_EUlifE_EEvlNS_15PhiloxCudaStateESF_SG_,comdat
	.globl	_ZN2at6native12_GLOBAL__N_143distribution_elementwise_grid_stride_kernelIfLi4EZNS0_9templates4cuda21uniform_and_transformIlfPNS_17CUDAGeneratorImplEZZZNS4_16geometric_kernelIS7_EEvRNS_18TensorIteratorBaseEdT_ENKUlvE_clEvENKUlvE2_clEvEUlfE_EEvSA_T1_T2_EUlP25hiprandStatePhilox4_32_10E_ZNS1_27distribution_nullary_kernelIlf15HIP_vector_typeIdLj2EES7_SJ_SE_EEvSA_SG_RKT3_T4_EUlifE_EEvlNS_15PhiloxCudaStateESF_SG_ ; -- Begin function _ZN2at6native12_GLOBAL__N_143distribution_elementwise_grid_stride_kernelIfLi4EZNS0_9templates4cuda21uniform_and_transformIlfPNS_17CUDAGeneratorImplEZZZNS4_16geometric_kernelIS7_EEvRNS_18TensorIteratorBaseEdT_ENKUlvE_clEvENKUlvE2_clEvEUlfE_EEvSA_T1_T2_EUlP25hiprandStatePhilox4_32_10E_ZNS1_27distribution_nullary_kernelIlf15HIP_vector_typeIdLj2EES7_SJ_SE_EEvSA_SG_RKT3_T4_EUlifE_EEvlNS_15PhiloxCudaStateESF_SG_
	.p2align	8
	.type	_ZN2at6native12_GLOBAL__N_143distribution_elementwise_grid_stride_kernelIfLi4EZNS0_9templates4cuda21uniform_and_transformIlfPNS_17CUDAGeneratorImplEZZZNS4_16geometric_kernelIS7_EEvRNS_18TensorIteratorBaseEdT_ENKUlvE_clEvENKUlvE2_clEvEUlfE_EEvSA_T1_T2_EUlP25hiprandStatePhilox4_32_10E_ZNS1_27distribution_nullary_kernelIlf15HIP_vector_typeIdLj2EES7_SJ_SE_EEvSA_SG_RKT3_T4_EUlifE_EEvlNS_15PhiloxCudaStateESF_SG_,@function
_ZN2at6native12_GLOBAL__N_143distribution_elementwise_grid_stride_kernelIfLi4EZNS0_9templates4cuda21uniform_and_transformIlfPNS_17CUDAGeneratorImplEZZZNS4_16geometric_kernelIS7_EEvRNS_18TensorIteratorBaseEdT_ENKUlvE_clEvENKUlvE2_clEvEUlfE_EEvSA_T1_T2_EUlP25hiprandStatePhilox4_32_10E_ZNS1_27distribution_nullary_kernelIlf15HIP_vector_typeIdLj2EES7_SJ_SE_EEvSA_SG_RKT3_T4_EUlifE_EEvlNS_15PhiloxCudaStateESF_SG_: ; @_ZN2at6native12_GLOBAL__N_143distribution_elementwise_grid_stride_kernelIfLi4EZNS0_9templates4cuda21uniform_and_transformIlfPNS_17CUDAGeneratorImplEZZZNS4_16geometric_kernelIS7_EEvRNS_18TensorIteratorBaseEdT_ENKUlvE_clEvENKUlvE2_clEvEUlfE_EEvSA_T1_T2_EUlP25hiprandStatePhilox4_32_10E_ZNS1_27distribution_nullary_kernelIlf15HIP_vector_typeIdLj2EES7_SJ_SE_EEvSA_SG_RKT3_T4_EUlifE_EEvlNS_15PhiloxCudaStateESF_SG_
; %bb.0:
	s_load_dword s2, s[4:5], 0x20
	s_load_dwordx2 s[0:1], s[4:5], 0x10
	s_load_dwordx4 s[8:11], s[4:5], 0x0
	s_waitcnt lgkmcnt(0)
	s_bitcmp0_b32 s2, 0
	s_mov_b32 s2, 0
	v_pk_mov_b32 v[2:3], s[0:1], s[0:1] op_sel:[0,1]
	v_pk_mov_b32 v[14:15], s[10:11], s[10:11] op_sel:[0,1]
	s_cbranch_scc1 .LBB12_2
; %bb.1:
	v_pk_mov_b32 v[2:3], s[0:1], s[0:1] op_sel:[0,1]
	flat_load_dwordx2 v[2:3], v[2:3]
	v_pk_mov_b32 v[4:5], s[10:11], s[10:11] op_sel:[0,1]
	flat_load_dwordx2 v[14:15], v[4:5]
	s_load_dwordx2 s[0:1], s[4:5], 0x18
	s_waitcnt lgkmcnt(0)
	v_mov_b32_e32 v1, s1
	s_waitcnt vmcnt(0)
	v_add_co_u32_e32 v2, vcc, s0, v2
	v_addc_co_u32_e32 v3, vcc, v3, v1, vcc
.LBB12_2:
	s_load_dword s0, s[4:5], 0x54
	s_load_dword s17, s[4:5], 0x48
	s_waitcnt lgkmcnt(0)
	s_and_b32 s7, s0, 0xffff
	s_add_u32 s10, s8, -1
	s_mul_i32 s12, s17, s7
	s_addc_u32 s3, s9, -1
	s_lshl_b32 s13, s12, 2
	s_cmp_lg_u64 s[2:3], 0
	s_mov_b64 s[0:1], -1
	s_cbranch_scc0 .LBB12_27
; %bb.3:
	v_cvt_f32_u32_e32 v1, s13
	v_cvt_f32_ubyte0_e32 v4, 0
	s_sub_u32 s2, 0, s13
	s_subb_u32 s11, 0, 0
	v_madmk_f32 v1, v4, 0x4f800000, v1
	v_rcp_f32_e32 v1, v1
	v_mul_f32_e32 v1, 0x5f7ffffc, v1
	v_mul_f32_e32 v4, 0x2f800000, v1
	v_trunc_f32_e32 v4, v4
	v_madmk_f32 v1, v4, 0xcf800000, v1
	v_cvt_u32_f32_e32 v4, v4
	v_cvt_u32_f32_e32 v1, v1
	v_readfirstlane_b32 s14, v4
	v_readfirstlane_b32 s15, v1
	s_mul_i32 s16, s2, s14
	s_mul_hi_u32 s19, s2, s15
	s_mul_i32 s18, s11, s15
	s_add_i32 s16, s19, s16
	s_add_i32 s16, s16, s18
	s_mul_i32 s20, s2, s15
	s_mul_hi_u32 s18, s15, s16
	s_mul_i32 s19, s15, s16
	s_mul_hi_u32 s15, s15, s20
	s_add_u32 s15, s15, s19
	s_addc_u32 s18, 0, s18
	s_mul_hi_u32 s21, s14, s20
	s_mul_i32 s20, s14, s20
	s_add_u32 s15, s15, s20
	s_mul_hi_u32 s19, s14, s16
	s_addc_u32 s15, s18, s21
	s_addc_u32 s18, s19, 0
	s_mul_i32 s16, s14, s16
	s_add_u32 s15, s15, s16
	s_addc_u32 s16, 0, s18
	v_add_co_u32_e32 v1, vcc, s15, v1
	s_cmp_lg_u64 vcc, 0
	s_addc_u32 s14, s14, s16
	v_readfirstlane_b32 s16, v1
	s_mul_i32 s15, s2, s14
	s_mul_hi_u32 s18, s2, s16
	s_add_i32 s15, s18, s15
	s_mul_i32 s11, s11, s16
	s_add_i32 s15, s15, s11
	s_mul_i32 s2, s2, s16
	s_mul_hi_u32 s18, s14, s2
	s_mul_i32 s19, s14, s2
	s_mul_i32 s21, s16, s15
	s_mul_hi_u32 s2, s16, s2
	s_mul_hi_u32 s20, s16, s15
	s_add_u32 s2, s2, s21
	s_addc_u32 s16, 0, s20
	s_add_u32 s2, s2, s19
	s_mul_hi_u32 s11, s14, s15
	s_addc_u32 s2, s16, s18
	s_addc_u32 s11, s11, 0
	s_mul_i32 s15, s14, s15
	s_add_u32 s2, s2, s15
	s_addc_u32 s11, 0, s11
	v_add_co_u32_e32 v1, vcc, s2, v1
	s_cmp_lg_u64 vcc, 0
	s_addc_u32 s11, s14, s11
	s_ashr_i32 s14, s3, 31
	s_add_u32 s2, s10, s14
	s_mov_b32 s15, s14
	s_addc_u32 s3, s3, s14
	s_xor_b64 s[2:3], s[2:3], s[14:15]
	v_readfirstlane_b32 s19, v1
	s_mul_i32 s18, s2, s11
	s_mul_hi_u32 s20, s2, s19
	s_mul_hi_u32 s16, s2, s11
	s_add_u32 s18, s20, s18
	s_addc_u32 s16, 0, s16
	s_mul_hi_u32 s21, s3, s19
	s_mul_i32 s19, s3, s19
	s_add_u32 s18, s18, s19
	s_mul_hi_u32 s20, s3, s11
	s_addc_u32 s16, s16, s21
	s_addc_u32 s18, s20, 0
	s_mul_i32 s11, s3, s11
	s_add_u32 s11, s16, s11
	s_addc_u32 s16, 0, s18
	s_add_u32 s18, s11, 1
	s_addc_u32 s19, s16, 0
	s_add_u32 s20, s11, 2
	s_mul_i32 s22, s13, s16
	s_mul_hi_u32 s23, s13, s11
	s_addc_u32 s21, s16, 0
	s_add_i32 s23, s23, s22
	s_mul_i32 s22, s13, s11
	v_mov_b32_e32 v1, s22
	v_sub_co_u32_e32 v1, vcc, s2, v1
	s_cmp_lg_u64 vcc, 0
	s_subb_u32 s2, s3, s23
	v_subrev_co_u32_e32 v4, vcc, s13, v1
	s_cmp_lg_u64 vcc, 0
	s_subb_u32 s3, s2, 0
	v_readfirstlane_b32 s22, v4
	s_cmp_ge_u32 s22, s13
	s_cselect_b32 s22, -1, 0
	s_cmp_eq_u32 s3, 0
	s_cselect_b32 s3, s22, -1
	s_cmp_lg_u32 s3, 0
	s_cselect_b32 s3, s21, s19
	v_readfirstlane_b32 s19, v1
	s_cselect_b32 s18, s20, s18
	s_cmp_ge_u32 s19, s13
	s_cselect_b32 s19, -1, 0
	s_cmp_eq_u32 s2, 0
	s_cselect_b32 s2, s19, -1
	s_cmp_lg_u32 s2, 0
	s_cselect_b32 s3, s3, s16
	s_cselect_b32 s2, s18, s11
	s_xor_b64 s[2:3], s[2:3], s[14:15]
	s_sub_u32 s2, s2, s14
	s_subb_u32 s3, s3, s14
	s_cbranch_execnz .LBB12_5
.LBB12_4:
	v_cvt_f32_u32_e32 v1, s13
	s_sub_i32 s0, 0, s13
	s_mov_b32 s3, 0
	v_rcp_iflag_f32_e32 v1, v1
	v_mul_f32_e32 v1, 0x4f7ffffe, v1
	v_cvt_u32_f32_e32 v1, v1
	v_readfirstlane_b32 s1, v1
	s_mul_i32 s0, s0, s1
	s_mul_hi_u32 s0, s1, s0
	s_add_i32 s1, s1, s0
	s_mul_hi_u32 s0, s10, s1
	s_mul_i32 s2, s0, s13
	s_sub_i32 s2, s10, s2
	s_add_i32 s1, s0, 1
	s_sub_i32 s10, s2, s13
	s_cmp_ge_u32 s2, s13
	s_cselect_b32 s0, s1, s0
	s_cselect_b32 s2, s10, s2
	s_add_i32 s1, s0, 1
	s_cmp_ge_u32 s2, s13
	s_cselect_b32 s2, s1, s0
.LBB12_5:
	v_mov_b32_e32 v1, 0
	v_mov_b32_e32 v4, s6
	v_mad_u64_u32 v[16:17], s[0:1], s7, v4, v[0:1]
	s_add_u32 s0, s2, 1
	s_addc_u32 s1, s3, 0
	s_mul_hi_u32 s2, s17, s7
	s_mul_i32 s1, s12, s1
	s_mul_hi_u32 s3, s12, s0
	s_add_i32 s1, s3, s1
	s_mul_i32 s2, s2, s0
	s_add_i32 s1, s1, s2
	s_mul_i32 s0, s12, s0
	s_lshl_b64 s[2:3], s[0:1], 2
	v_cmp_gt_i64_e32 vcc, s[2:3], v[16:17]
	s_and_saveexec_b64 s[0:1], vcc
	s_cbranch_execz .LBB12_26
; %bb.6:
	s_load_dwordx2 s[10:11], s[4:5], 0x30
	s_load_dword s27, s[4:5], 0x38
	s_load_dwordx2 s[0:1], s[4:5], 0x40
	s_mov_b32 s4, 0x5384540f
	v_mov_b32_e32 v4, v15
	v_add_co_u32_e32 v24, vcc, s4, v14
	s_mov_b32 s4, 0x646e171e
	v_add_co_u32_e32 v25, vcc, s4, v4
	s_mov_b32 s4, 0x1715609d
	;; [unrolled: 2-line block ×6, first 2 shown]
	v_alignbit_b32 v31, v3, v2, 2
	s_mov_b32 s15, 0xd2511f53
	v_add_co_u32_e32 v30, vcc, s4, v14
	v_mad_u64_u32 v[6:7], s[4:5], v31, s15, 0
	v_xor_b32_e32 v1, v7, v15
	v_xor_b32_e32 v1, v1, v17
	s_mov_b32 s16, 0xcd9e8d57
	v_mad_u64_u32 v[8:9], s[4:5], v1, s16, 0
	v_xor_b32_e32 v1, v30, v9
	v_mad_u64_u32 v[10:11], s[4:5], v16, s16, 0
	v_and_b32_e32 v20, 3, v2
	v_xor_b32_e32 v1, v1, v10
	v_xor_b32_e32 v2, v14, v11
	v_lshrrev_b32_e32 v32, 2, v3
	v_mad_u64_u32 v[12:13], s[4:5], v1, s15, 0
	v_xor_b32_e32 v2, v2, v32
	v_xor_b32_e32 v1, v29, v13
	v_mad_u64_u32 v[2:3], s[4:5], v2, s15, 0
	v_xor_b32_e32 v1, v1, v2
	v_mad_u64_u32 v[10:11], s[4:5], v1, s16, 0
	s_mov_b32 s4, 0xbb67ae85
	v_add_co_u32_e32 v33, vcc, s4, v4
	v_xor_b32_e32 v2, v33, v3
	v_xor_b32_e32 v2, v2, v6
	v_xor_b32_e32 v1, v28, v11
	v_mad_u64_u32 v[2:3], s[4:5], v2, s16, 0
	v_xor_b32_e32 v1, v1, v2
	v_mad_u64_u32 v[6:7], s[4:5], v1, s15, 0
	s_mov_b32 s4, 0x3c6ef372
	v_add_co_u32_e32 v34, vcc, s4, v14
	v_xor_b32_e32 v2, v34, v3
	;; [unrolled: 8-line block ×6, first 2 shown]
	v_add_co_u32_e32 v23, vcc, 0xdb3d7428, v4
	v_xor_b32_e32 v2, v2, v8
	v_xor_b32_e32 v1, v23, v19
	v_mad_u64_u32 v[2:3], s[4:5], v2, s15, 0
	v_xor_b32_e32 v1, v1, v2
	v_mad_u64_u32 v[6:7], s[4:5], v1, s16, 0
	s_mov_b32 s4, 0x1fd5c5a3
	v_add_co_u32_e32 v39, vcc, s4, v4
	v_xor_b32_e32 v1, v39, v3
	v_xor_b32_e32 v1, v1, v12
	v_mad_u64_u32 v[2:3], s[4:5], v1, s16, 0
	s_mov_b32 s4, 0xf1bbcdc8
	v_add_u32_e32 v21, 0x8ff34781, v14
	v_xor_b32_e32 v1, v7, v2
	v_add_co_u32_e32 v40, vcc, s4, v14
	v_xor_b32_e32 v2, v21, v1
	v_xor_b32_e32 v1, v40, v3
	;; [unrolled: 1-line block ×3, first 2 shown]
	v_mad_u64_u32 v[8:9], s[4:5], v1, s15, 0
	v_add_u32_e32 v22, 0x96a522ad, v15
	v_xor_b32_e32 v1, v9, v18
	v_xor_b32_e32 v4, v22, v1
	s_waitcnt lgkmcnt(0)
	v_cvt_f32_f64_e32 v1, s[0:1]
	v_sub_f32_e32 v3, 1.0, v1
	v_add_f32_e32 v5, -1.0, v3
	v_sub_f32_e32 v7, v5, v3
	v_add_f32_e32 v7, 1.0, v7
	v_sub_f32_e64 v5, -v1, v5
	v_add_f32_e32 v5, v5, v7
	v_frexp_mant_f32_e32 v7, v3
	s_mov_b32 s0, 0x3f2aaaab
	v_cvt_f64_f32_e32 v[10:11], v3
	v_frexp_exp_i32_f64_e32 v9, v[10:11]
	v_cmp_gt_f32_e32 vcc, s0, v7
	v_subbrev_co_u32_e32 v7, vcc, 0, v9, vcc
	v_sub_u32_e32 v9, 0, v7
	v_ldexp_f32 v3, v3, v9
	v_ldexp_f32 v5, v5, v9
	v_add_f32_e32 v9, -1.0, v3
	v_add_f32_e32 v12, 1.0, v3
	v_add_f32_e32 v10, 1.0, v9
	v_add_f32_e32 v13, -1.0, v12
	v_sub_f32_e32 v10, v3, v10
	v_sub_f32_e32 v3, v3, v13
	v_add_f32_e32 v3, v5, v3
	v_add_f32_e32 v10, v5, v10
	;; [unrolled: 1-line block ×3, first 2 shown]
	v_rcp_f32_e32 v13, v5
	v_add_f32_e32 v11, v9, v10
	v_sub_f32_e32 v9, v11, v9
	v_sub_f32_e32 v9, v10, v9
	;; [unrolled: 1-line block ×4, first 2 shown]
	v_mul_f32_e32 v10, v11, v13
	v_mul_f32_e32 v12, v5, v10
	v_fma_f32 v18, v10, v5, -v12
	v_fmac_f32_e32 v18, v10, v3
	v_add_f32_e32 v19, v12, v18
	v_sub_f32_e32 v41, v11, v19
	v_sub_f32_e32 v11, v11, v41
	;; [unrolled: 1-line block ×4, first 2 shown]
	v_add_f32_e32 v9, v9, v11
	v_sub_f32_e32 v11, v12, v18
	v_add_f32_e32 v9, v11, v9
	v_add_f32_e32 v11, v41, v9
	v_mul_f32_e32 v12, v13, v11
	v_mul_f32_e32 v18, v5, v12
	v_fma_f32 v5, v12, v5, -v18
	v_fmac_f32_e32 v5, v12, v3
	v_sub_f32_e32 v3, v41, v11
	v_add_f32_e32 v3, v9, v3
	v_add_f32_e32 v9, v18, v5
	v_sub_f32_e32 v19, v11, v9
	v_sub_f32_e32 v11, v11, v19
	v_sub_f32_e32 v18, v9, v18
	v_sub_f32_e32 v9, v11, v9
	v_add_f32_e32 v3, v3, v9
	v_sub_f32_e32 v5, v18, v5
	v_add_f32_e32 v3, v5, v3
	v_add_f32_e32 v5, v10, v12
	v_add_f32_e32 v3, v19, v3
	v_sub_f32_e32 v9, v5, v10
	v_mul_f32_e32 v3, v13, v3
	v_sub_f32_e32 v9, v12, v9
	v_add_f32_e32 v3, v9, v3
	v_cvt_f32_i32_e32 v7, v7
	v_add_f32_e32 v9, v5, v3
	v_mul_f32_e32 v10, v9, v9
	v_mov_b32_e32 v11, 0x3ecc95a3
	v_fmac_f32_e32 v11, 0x3e9b6dac, v10
	v_mov_b32_e32 v12, 0x3f2aaada
	v_fmac_f32_e32 v12, v10, v11
	s_mov_b32 s0, 0x3f317218
	v_mul_f32_e32 v11, 0x3f317218, v7
	v_fma_f32 v13, v7, s0, -v11
	v_fmac_f32_e32 v13, 0xb102e308, v7
	v_sub_f32_e32 v5, v9, v5
	v_sub_f32_e32 v3, v3, v5
	v_add_f32_e32 v5, v11, v13
	v_sub_f32_e32 v7, v5, v11
	v_ldexp_f32 v11, v9, 1
	v_mul_f32_e32 v9, v9, v10
	v_mul_f32_e32 v9, v9, v12
	v_add_f32_e32 v10, v11, v9
	v_sub_f32_e32 v11, v10, v11
	v_ldexp_f32 v3, v3, 1
	v_sub_f32_e32 v9, v9, v11
	v_add_f32_e32 v3, v3, v9
	v_add_f32_e32 v9, v10, v3
	v_sub_f32_e32 v10, v9, v10
	v_sub_f32_e32 v3, v3, v10
	v_add_f32_e32 v10, v5, v9
	v_sub_f32_e32 v11, v10, v5
	v_sub_f32_e32 v12, v10, v11
	;; [unrolled: 1-line block ×5, first 2 shown]
	v_add_f32_e32 v5, v9, v5
	v_add_f32_e32 v9, v7, v3
	v_sub_f32_e32 v11, v9, v7
	v_sub_f32_e32 v12, v9, v11
	;; [unrolled: 1-line block ×4, first 2 shown]
	v_add_f32_e32 v5, v9, v5
	v_add_f32_e32 v3, v3, v7
	;; [unrolled: 1-line block ×3, first 2 shown]
	v_sub_f32_e32 v9, v7, v10
	v_sub_f32_e32 v5, v5, v9
	v_add_f32_e32 v3, v3, v5
	s_mov_b32 s0, 0xff800000
	v_add_f32_e32 v3, v7, v3
	v_cmp_eq_f32_e32 vcc, s0, v1
	v_cndmask_b32_e64 v3, v3, -v1, vcc
	v_mov_b32_e32 v5, 0x7fc00000
	v_cmp_nlt_f32_e32 vcc, 1.0, v1
	v_cndmask_b32_e32 v3, v5, v3, vcc
	v_mov_b32_e32 v5, 0xff800000
	v_cmp_neq_f32_e32 vcc, 1.0, v1
	s_mov_b32 s0, 0x33800000
	v_cndmask_b32_e32 v3, v5, v3, vcc
	v_log_f32_e32 v5, s0
	v_cmp_lt_f32_e64 s[0:1], |v1|, s0
	v_cndmask_b32_e64 v41, v3, -v1, s[0:1]
	s_mov_b32 s18, 0x3f317217
	v_mul_f32_e32 v1, 0x3f317217, v5
	v_fma_f32 v3, v5, s18, -v1
	v_fmac_f32_e32 v3, 0x3377d1cf, v5
	s_mov_b32 s19, 0x7f800000
	v_add_f32_e32 v1, v1, v3
	v_cmp_lt_f32_e64 vcc, |v5|, s19
	v_cndmask_b32_e32 v1, v5, v1, vcc
	v_div_scale_f32 v7, s[0:1], v41, v41, v1
	v_rcp_f32_e32 v9, v7
	v_mov_b32_e32 v3, v6
	v_mov_b32_e32 v5, v8
	s_mov_b32 s21, 0x2f800000
	v_fma_f32 v6, -v7, v9, 1.0
	v_fmac_f32_e32 v9, v6, v9
	v_div_scale_f32 v6, vcc, v1, v41, v1
	v_mul_f32_e32 v8, v6, v9
	v_fma_f32 v10, -v7, v8, v6
	v_fmac_f32_e32 v8, v10, v9
	v_fma_f32 v6, -v7, v8, v6
	v_div_fmas_f32 v6, v6, v9, v8
	v_div_fixup_f32 v1, v6, v41, v1
	v_ceil_f32_e32 v1, v1
	v_mul_f32_e64 v6, |v1|, s21
	v_floor_f32_e32 v6, v6
	s_mov_b32 s22, 0xcf800000
	v_fma_f32 v7, v6, s22, |v1|
	v_cvt_u32_f32_e32 v7, v7
	v_cvt_u32_f32_e32 v6, v6
	v_ashrrev_i32_e32 v1, 31, v1
	s_mul_i32 s0, s6, s7
	v_xor_b32_e32 v7, v7, v1
	v_xor_b32_e32 v6, v6, v1
	v_sub_co_u32_e32 v18, vcc, v7, v1
	v_subb_co_u32_e32 v19, vcc, v6, v1, vcc
	v_add_u32_e32 v1, s0, v0
	s_mul_i32 s0, s17, s27
	s_mul_i32 s0, s0, s7
	s_lshl_b32 s26, s0, 2
	s_mul_i32 s0, s17, 3
	s_add_i32 s0, s6, s0
	s_mul_i32 s0, s0, s7
	v_mul_lo_u32 v42, s27, v1
	v_add_u32_e32 v1, s0, v0
	s_lshl_b32 s0, s17, 1
	s_add_i32 s0, s6, s0
	s_mul_i32 s0, s0, s7
	v_mul_lo_u32 v43, s27, v1
	v_add_u32_e32 v1, s0, v0
	s_add_i32 s0, s6, s17
	s_mul_i32 s0, s0, s7
	s_mov_b32 s14, 0
	v_add_u32_e32 v0, s0, v0
	s_lshl_b32 s20, s12, 1
	s_mov_b32 s23, s14
	s_mul_i32 s24, s12, 3
	s_mov_b32 s25, s14
	v_mul_lo_u32 v44, s27, v1
	v_mul_lo_u32 v45, s27, v0
	s_mov_b64 s[4:5], 0
	s_mov_b32 s17, 0x800000
	v_mov_b32_e32 v46, 0x4f800000
	v_mov_b32_e32 v47, 0x41b17218
	s_mov_b32 s27, s14
	v_mov_b32_e32 v48, v16
	v_mov_b32_e32 v49, v17
	s_branch .LBB12_8
.LBB12_7:                               ;   in Loop: Header=BB12_8 Depth=1
	s_or_b64 exec, exec, s[0:1]
	v_add_co_u32_e32 v16, vcc, s13, v16
	v_addc_co_u32_e32 v17, vcc, 0, v17, vcc
	v_mov_b32_e32 v9, v0
	s_add_i32 s27, s27, s26
	v_cmp_le_i64_e32 vcc, s[2:3], v[16:17]
	v_pk_mov_b32 v[2:3], v[6:7], v[6:7] op_sel:[0,1]
	s_or_b64 s[4:5], vcc, s[4:5]
	v_pk_mov_b32 v[4:5], v[8:9], v[8:9] op_sel:[0,1]
	s_barrier
	s_andn2_b64 exec, exec, s[4:5]
	s_cbranch_execz .LBB12_26
.LBB12_8:                               ; =>This Inner Loop Header: Depth=1
	v_add_co_u32_e32 v31, vcc, 1, v31
	v_cndmask_b32_e64 v0, 0, 1, vcc
	v_addc_co_u32_e32 v32, vcc, 0, v32, vcc
	v_cmp_eq_u32_e32 vcc, 0, v32
	v_cndmask_b32_e32 v0, 0, v0, vcc
	v_add_u32_e32 v48, v0, v48
	v_cmp_eq_u32_e32 vcc, 0, v48
	v_cndmask_b32_e32 v0, 0, v0, vcc
	v_add_u32_e32 v49, v0, v49
	v_mad_u64_u32 v[0:1], s[0:1], v31, s15, 0
	v_mad_u64_u32 v[6:7], s[0:1], v48, s16, 0
	v_xor_b32_e32 v1, v1, v15
	v_xor_b32_e32 v7, v7, v14
	v_xor_b32_e32 v1, v49, v1
	v_xor_b32_e32 v7, v32, v7
	v_mad_u64_u32 v[10:11], s[0:1], v1, s16, 0
	v_mad_u64_u32 v[8:9], s[0:1], v7, s15, 0
	v_xor_b32_e32 v1, v30, v11
	v_xor_b32_e32 v1, v1, v6
	v_xor_b32_e32 v6, v33, v9
	v_xor_b32_e32 v6, v6, v0
	;; [unrolled: 6-line block ×10, first 2 shown]
	v_mov_b32_e32 v7, v12
	v_mov_b32_e32 v8, v13
	v_cmp_lt_i32_e32 vcc, 1, v20
	s_and_saveexec_b64 s[0:1], vcc
	s_xor_b64 s[0:1], exec, s[0:1]
	s_cbranch_execnz .LBB12_18
; %bb.9:                                ;   in Loop: Header=BB12_8 Depth=1
	s_andn2_saveexec_b64 s[0:1], s[0:1]
	s_cbranch_execnz .LBB12_23
.LBB12_10:                              ;   in Loop: Header=BB12_8 Depth=1
	s_or_b64 exec, exec, s[0:1]
	v_cmp_gt_i64_e32 vcc, s[8:9], v[16:17]
	s_and_saveexec_b64 s[6:7], vcc
	s_cbranch_execz .LBB12_12
.LBB12_11:                              ;   in Loop: Header=BB12_8 Depth=1
	v_lshrrev_b32_e32 v1, 11, v3
	v_cvt_f64_u32_e32 v[10:11], v1
	v_ldexp_f64 v[10:11], v[10:11], 32
	v_cvt_f64_u32_e32 v[2:3], v2
	v_add_f64 v[2:3], v[10:11], v[2:3]
	v_mov_b32_e32 v10, 0
	v_mov_b32_e32 v11, 0x3ca00000
	v_fmac_f64_e32 v[10:11], 0x3ca00000, v[2:3]
	v_cvt_f32_f64_e32 v1, v[10:11]
	v_cmp_gt_f32_e32 vcc, s17, v1
	v_cndmask_b32_e32 v2, 1.0, v46, vcc
	v_mul_f32_e32 v1, v1, v2
	v_log_f32_e32 v1, v1
	v_add_u32_e32 v9, s27, v42
	v_ashrrev_i32_e32 v10, 31, v9
	v_mov_b32_e32 v11, s11
	v_mul_f32_e32 v2, 0x3f317217, v1
	v_fma_f32 v3, v1, s18, -v2
	v_fmac_f32_e32 v3, 0x3377d1cf, v1
	v_add_f32_e32 v2, v2, v3
	v_cmp_lt_f32_e64 s[0:1], |v1|, s19
	v_cndmask_b32_e64 v1, v1, v2, s[0:1]
	v_cndmask_b32_e32 v2, 0, v47, vcc
	v_sub_f32_e32 v1, v1, v2
	v_div_scale_f32 v2, s[0:1], v41, v41, v1
	v_rcp_f32_e32 v3, v2
	v_fma_f32 v12, -v2, v3, 1.0
	v_fmac_f32_e32 v3, v12, v3
	v_div_scale_f32 v12, vcc, v1, v41, v1
	v_mul_f32_e32 v13, v12, v3
	v_fma_f32 v50, -v2, v13, v12
	v_fmac_f32_e32 v13, v50, v3
	v_fma_f32 v2, -v2, v13, v12
	v_div_fmas_f32 v2, v2, v3, v13
	v_div_fixup_f32 v1, v2, v41, v1
	v_ceil_f32_e32 v1, v1
	v_mul_f32_e64 v2, |v1|, s21
	v_floor_f32_e32 v2, v2
	v_fma_f32 v3, v2, s22, |v1|
	v_cvt_u32_f32_e32 v12, v3
	v_cvt_u32_f32_e32 v13, v2
	v_add_co_u32_e32 v2, vcc, s10, v9
	v_ashrrev_i32_e32 v1, 31, v1
	v_addc_co_u32_e32 v3, vcc, v11, v10, vcc
	v_xor_b32_e32 v10, v12, v1
	v_xor_b32_e32 v9, v13, v1
	v_sub_co_u32_e32 v10, vcc, v10, v1
	v_subb_co_u32_e32 v11, vcc, v9, v1, vcc
	global_store_dwordx2 v[2:3], v[10:11], off
.LBB12_12:                              ;   in Loop: Header=BB12_8 Depth=1
	s_or_b64 exec, exec, s[6:7]
	v_mov_b32_e32 v1, s14
	v_add_co_u32_e32 v2, vcc, s12, v16
	v_addc_co_u32_e32 v3, vcc, v1, v17, vcc
	v_cmp_gt_i64_e32 vcc, s[8:9], v[2:3]
	s_and_saveexec_b64 s[6:7], vcc
	s_cbranch_execz .LBB12_14
; %bb.13:                               ;   in Loop: Header=BB12_8 Depth=1
	v_lshrrev_b32_e32 v1, 11, v5
	v_cvt_f64_u32_e32 v[2:3], v1
	v_ldexp_f64 v[2:3], v[2:3], 32
	v_cvt_f64_u32_e32 v[4:5], v4
	v_add_f64 v[2:3], v[2:3], v[4:5]
	v_mov_b32_e32 v4, 0
	v_mov_b32_e32 v5, 0x3ca00000
	v_fmac_f64_e32 v[4:5], 0x3ca00000, v[2:3]
	v_cvt_f32_f64_e32 v1, v[4:5]
	v_cmp_gt_f32_e32 vcc, s17, v1
	v_cndmask_b32_e32 v2, 1.0, v46, vcc
	v_mul_f32_e32 v1, v1, v2
	v_log_f32_e32 v1, v1
	v_add_u32_e32 v4, s27, v45
	v_ashrrev_i32_e32 v5, 31, v4
	v_mov_b32_e32 v9, s11
	v_mul_f32_e32 v2, 0x3f317217, v1
	v_fma_f32 v3, v1, s18, -v2
	v_fmac_f32_e32 v3, 0x3377d1cf, v1
	v_add_f32_e32 v2, v2, v3
	v_cmp_lt_f32_e64 s[0:1], |v1|, s19
	v_cndmask_b32_e64 v1, v1, v2, s[0:1]
	v_cndmask_b32_e32 v2, 0, v47, vcc
	v_sub_f32_e32 v1, v1, v2
	v_div_scale_f32 v2, s[0:1], v41, v41, v1
	v_rcp_f32_e32 v3, v2
	v_fma_f32 v10, -v2, v3, 1.0
	v_fmac_f32_e32 v3, v10, v3
	v_div_scale_f32 v10, vcc, v1, v41, v1
	v_mul_f32_e32 v11, v10, v3
	v_fma_f32 v12, -v2, v11, v10
	v_fmac_f32_e32 v11, v12, v3
	v_fma_f32 v2, -v2, v11, v10
	v_div_fmas_f32 v2, v2, v3, v11
	v_div_fixup_f32 v1, v2, v41, v1
	v_ceil_f32_e32 v1, v1
	v_mul_f32_e64 v2, |v1|, s21
	v_floor_f32_e32 v2, v2
	v_fma_f32 v3, v2, s22, |v1|
	v_cvt_u32_f32_e32 v10, v3
	v_cvt_u32_f32_e32 v11, v2
	v_add_co_u32_e32 v2, vcc, s10, v4
	v_ashrrev_i32_e32 v1, 31, v1
	v_addc_co_u32_e32 v3, vcc, v9, v5, vcc
	v_xor_b32_e32 v4, v10, v1
	v_xor_b32_e32 v5, v11, v1
	v_sub_co_u32_e32 v4, vcc, v4, v1
	v_subb_co_u32_e32 v5, vcc, v5, v1, vcc
	global_store_dwordx2 v[2:3], v[4:5], off
.LBB12_14:                              ;   in Loop: Header=BB12_8 Depth=1
	s_or_b64 exec, exec, s[6:7]
	v_mov_b32_e32 v1, s23
	v_add_co_u32_e32 v2, vcc, s20, v16
	v_addc_co_u32_e32 v3, vcc, v1, v17, vcc
	v_cmp_gt_i64_e32 vcc, s[8:9], v[2:3]
	s_and_saveexec_b64 s[0:1], vcc
	s_cbranch_execz .LBB12_16
; %bb.15:                               ;   in Loop: Header=BB12_8 Depth=1
	v_add_u32_e32 v1, s27, v44
	v_ashrrev_i32_e32 v3, 31, v1
	v_mov_b32_e32 v4, s11
	v_add_co_u32_e32 v2, vcc, s10, v1
	v_addc_co_u32_e32 v3, vcc, v4, v3, vcc
	global_store_dwordx2 v[2:3], v[18:19], off
.LBB12_16:                              ;   in Loop: Header=BB12_8 Depth=1
	s_or_b64 exec, exec, s[0:1]
	v_mov_b32_e32 v1, s25
	v_add_co_u32_e32 v2, vcc, s24, v16
	v_addc_co_u32_e32 v3, vcc, v1, v17, vcc
	v_cmp_gt_i64_e32 vcc, s[8:9], v[2:3]
	s_and_saveexec_b64 s[0:1], vcc
	s_cbranch_execz .LBB12_7
; %bb.17:                               ;   in Loop: Header=BB12_8 Depth=1
	v_add_u32_e32 v1, s27, v43
	v_ashrrev_i32_e32 v3, 31, v1
	v_mov_b32_e32 v4, s11
	v_add_co_u32_e32 v2, vcc, s10, v1
	v_addc_co_u32_e32 v3, vcc, v4, v3, vcc
	global_store_dwordx2 v[2:3], v[18:19], off
	s_branch .LBB12_7
.LBB12_18:                              ;   in Loop: Header=BB12_8 Depth=1
	v_cmp_lt_i32_e32 vcc, 2, v20
	s_and_saveexec_b64 s[6:7], vcc
	s_xor_b64 s[6:7], exec, s[6:7]
; %bb.19:                               ;   in Loop: Header=BB12_8 Depth=1
	v_mov_b32_e32 v10, v5
	v_mov_b32_e32 v11, v6
	v_pk_mov_b32 v[2:3], v[10:11], v[10:11] op_sel:[0,1]
	v_pk_mov_b32 v[4:5], v[12:13], v[12:13] op_sel:[0,1]
                                        ; implicit-def: $vgpr12_vgpr13
; %bb.20:                               ;   in Loop: Header=BB12_8 Depth=1
	s_andn2_saveexec_b64 s[6:7], s[6:7]
; %bb.21:                               ;   in Loop: Header=BB12_8 Depth=1
	v_mov_b32_e32 v2, v4
	v_mov_b32_e32 v3, v5
	;; [unrolled: 1-line block ×4, first 2 shown]
; %bb.22:                               ;   in Loop: Header=BB12_8 Depth=1
	s_or_b64 exec, exec, s[6:7]
	s_andn2_saveexec_b64 s[0:1], s[0:1]
	s_cbranch_execz .LBB12_10
.LBB12_23:                              ;   in Loop: Header=BB12_8 Depth=1
	v_cmp_eq_u32_e32 vcc, 1, v20
	s_and_saveexec_b64 s[6:7], vcc
; %bb.24:                               ;   in Loop: Header=BB12_8 Depth=1
	v_mov_b32_e32 v2, v3
	v_mov_b32_e32 v3, v4
	;; [unrolled: 1-line block ×4, first 2 shown]
; %bb.25:                               ;   in Loop: Header=BB12_8 Depth=1
	s_or_b64 exec, exec, s[6:7]
	s_or_b64 exec, exec, s[0:1]
	v_cmp_gt_i64_e32 vcc, s[8:9], v[16:17]
	s_and_saveexec_b64 s[6:7], vcc
	s_cbranch_execnz .LBB12_11
	s_branch .LBB12_12
.LBB12_26:
	s_endpgm
.LBB12_27:
                                        ; implicit-def: $sgpr2_sgpr3
	s_andn2_b64 vcc, exec, s[0:1]
	s_cbranch_vccz .LBB12_4
	s_branch .LBB12_5
	.section	.rodata,"a",@progbits
	.p2align	6, 0x0
	.amdhsa_kernel _ZN2at6native12_GLOBAL__N_143distribution_elementwise_grid_stride_kernelIfLi4EZNS0_9templates4cuda21uniform_and_transformIlfPNS_17CUDAGeneratorImplEZZZNS4_16geometric_kernelIS7_EEvRNS_18TensorIteratorBaseEdT_ENKUlvE_clEvENKUlvE2_clEvEUlfE_EEvSA_T1_T2_EUlP25hiprandStatePhilox4_32_10E_ZNS1_27distribution_nullary_kernelIlf15HIP_vector_typeIdLj2EES7_SJ_SE_EEvSA_SG_RKT3_T4_EUlifE_EEvlNS_15PhiloxCudaStateESF_SG_
		.amdhsa_group_segment_fixed_size 0
		.amdhsa_private_segment_fixed_size 0
		.amdhsa_kernarg_size 328
		.amdhsa_user_sgpr_count 6
		.amdhsa_user_sgpr_private_segment_buffer 1
		.amdhsa_user_sgpr_dispatch_ptr 0
		.amdhsa_user_sgpr_queue_ptr 0
		.amdhsa_user_sgpr_kernarg_segment_ptr 1
		.amdhsa_user_sgpr_dispatch_id 0
		.amdhsa_user_sgpr_flat_scratch_init 0
		.amdhsa_user_sgpr_kernarg_preload_length 0
		.amdhsa_user_sgpr_kernarg_preload_offset 0
		.amdhsa_user_sgpr_private_segment_size 0
		.amdhsa_uses_dynamic_stack 0
		.amdhsa_system_sgpr_private_segment_wavefront_offset 0
		.amdhsa_system_sgpr_workgroup_id_x 1
		.amdhsa_system_sgpr_workgroup_id_y 0
		.amdhsa_system_sgpr_workgroup_id_z 0
		.amdhsa_system_sgpr_workgroup_info 0
		.amdhsa_system_vgpr_workitem_id 0
		.amdhsa_next_free_vgpr 52
		.amdhsa_next_free_sgpr 28
		.amdhsa_accum_offset 52
		.amdhsa_reserve_vcc 1
		.amdhsa_reserve_flat_scratch 0
		.amdhsa_float_round_mode_32 0
		.amdhsa_float_round_mode_16_64 0
		.amdhsa_float_denorm_mode_32 3
		.amdhsa_float_denorm_mode_16_64 3
		.amdhsa_dx10_clamp 1
		.amdhsa_ieee_mode 1
		.amdhsa_fp16_overflow 0
		.amdhsa_tg_split 0
		.amdhsa_exception_fp_ieee_invalid_op 0
		.amdhsa_exception_fp_denorm_src 0
		.amdhsa_exception_fp_ieee_div_zero 0
		.amdhsa_exception_fp_ieee_overflow 0
		.amdhsa_exception_fp_ieee_underflow 0
		.amdhsa_exception_fp_ieee_inexact 0
		.amdhsa_exception_int_div_zero 0
	.end_amdhsa_kernel
	.section	.text._ZN2at6native12_GLOBAL__N_143distribution_elementwise_grid_stride_kernelIfLi4EZNS0_9templates4cuda21uniform_and_transformIlfPNS_17CUDAGeneratorImplEZZZNS4_16geometric_kernelIS7_EEvRNS_18TensorIteratorBaseEdT_ENKUlvE_clEvENKUlvE2_clEvEUlfE_EEvSA_T1_T2_EUlP25hiprandStatePhilox4_32_10E_ZNS1_27distribution_nullary_kernelIlf15HIP_vector_typeIdLj2EES7_SJ_SE_EEvSA_SG_RKT3_T4_EUlifE_EEvlNS_15PhiloxCudaStateESF_SG_,"axG",@progbits,_ZN2at6native12_GLOBAL__N_143distribution_elementwise_grid_stride_kernelIfLi4EZNS0_9templates4cuda21uniform_and_transformIlfPNS_17CUDAGeneratorImplEZZZNS4_16geometric_kernelIS7_EEvRNS_18TensorIteratorBaseEdT_ENKUlvE_clEvENKUlvE2_clEvEUlfE_EEvSA_T1_T2_EUlP25hiprandStatePhilox4_32_10E_ZNS1_27distribution_nullary_kernelIlf15HIP_vector_typeIdLj2EES7_SJ_SE_EEvSA_SG_RKT3_T4_EUlifE_EEvlNS_15PhiloxCudaStateESF_SG_,comdat
.Lfunc_end12:
	.size	_ZN2at6native12_GLOBAL__N_143distribution_elementwise_grid_stride_kernelIfLi4EZNS0_9templates4cuda21uniform_and_transformIlfPNS_17CUDAGeneratorImplEZZZNS4_16geometric_kernelIS7_EEvRNS_18TensorIteratorBaseEdT_ENKUlvE_clEvENKUlvE2_clEvEUlfE_EEvSA_T1_T2_EUlP25hiprandStatePhilox4_32_10E_ZNS1_27distribution_nullary_kernelIlf15HIP_vector_typeIdLj2EES7_SJ_SE_EEvSA_SG_RKT3_T4_EUlifE_EEvlNS_15PhiloxCudaStateESF_SG_, .Lfunc_end12-_ZN2at6native12_GLOBAL__N_143distribution_elementwise_grid_stride_kernelIfLi4EZNS0_9templates4cuda21uniform_and_transformIlfPNS_17CUDAGeneratorImplEZZZNS4_16geometric_kernelIS7_EEvRNS_18TensorIteratorBaseEdT_ENKUlvE_clEvENKUlvE2_clEvEUlfE_EEvSA_T1_T2_EUlP25hiprandStatePhilox4_32_10E_ZNS1_27distribution_nullary_kernelIlf15HIP_vector_typeIdLj2EES7_SJ_SE_EEvSA_SG_RKT3_T4_EUlifE_EEvlNS_15PhiloxCudaStateESF_SG_
                                        ; -- End function
	.section	.AMDGPU.csdata,"",@progbits
; Kernel info:
; codeLenInByte = 3628
; NumSgprs: 32
; NumVgprs: 52
; NumAgprs: 0
; TotalNumVgprs: 52
; ScratchSize: 0
; MemoryBound: 0
; FloatMode: 240
; IeeeMode: 1
; LDSByteSize: 0 bytes/workgroup (compile time only)
; SGPRBlocks: 3
; VGPRBlocks: 6
; NumSGPRsForWavesPerEU: 32
; NumVGPRsForWavesPerEU: 52
; AccumOffset: 52
; Occupancy: 8
; WaveLimiterHint : 0
; COMPUTE_PGM_RSRC2:SCRATCH_EN: 0
; COMPUTE_PGM_RSRC2:USER_SGPR: 6
; COMPUTE_PGM_RSRC2:TRAP_HANDLER: 0
; COMPUTE_PGM_RSRC2:TGID_X_EN: 1
; COMPUTE_PGM_RSRC2:TGID_Y_EN: 0
; COMPUTE_PGM_RSRC2:TGID_Z_EN: 0
; COMPUTE_PGM_RSRC2:TIDIG_COMP_CNT: 0
; COMPUTE_PGM_RSRC3_GFX90A:ACCUM_OFFSET: 12
; COMPUTE_PGM_RSRC3_GFX90A:TG_SPLIT: 0
	.section	.text._ZN2at6native12_GLOBAL__N_143distribution_elementwise_grid_stride_kernelIfLi4EZNS0_9templates4cuda21uniform_and_transformIlfPNS_17CUDAGeneratorImplEZZZNS4_16geometric_kernelIS7_EEvRNS_18TensorIteratorBaseEdT_ENKUlvE_clEvENKUlvE2_clEvEUlfE_EEvSA_T1_T2_EUlP25hiprandStatePhilox4_32_10E_ZNS1_27distribution_nullary_kernelIlf15HIP_vector_typeIdLj2EES7_SJ_SE_EEvSA_SG_RKT3_T4_EUlifE0_EEvlNS_15PhiloxCudaStateESF_SG_,"axG",@progbits,_ZN2at6native12_GLOBAL__N_143distribution_elementwise_grid_stride_kernelIfLi4EZNS0_9templates4cuda21uniform_and_transformIlfPNS_17CUDAGeneratorImplEZZZNS4_16geometric_kernelIS7_EEvRNS_18TensorIteratorBaseEdT_ENKUlvE_clEvENKUlvE2_clEvEUlfE_EEvSA_T1_T2_EUlP25hiprandStatePhilox4_32_10E_ZNS1_27distribution_nullary_kernelIlf15HIP_vector_typeIdLj2EES7_SJ_SE_EEvSA_SG_RKT3_T4_EUlifE0_EEvlNS_15PhiloxCudaStateESF_SG_,comdat
	.globl	_ZN2at6native12_GLOBAL__N_143distribution_elementwise_grid_stride_kernelIfLi4EZNS0_9templates4cuda21uniform_and_transformIlfPNS_17CUDAGeneratorImplEZZZNS4_16geometric_kernelIS7_EEvRNS_18TensorIteratorBaseEdT_ENKUlvE_clEvENKUlvE2_clEvEUlfE_EEvSA_T1_T2_EUlP25hiprandStatePhilox4_32_10E_ZNS1_27distribution_nullary_kernelIlf15HIP_vector_typeIdLj2EES7_SJ_SE_EEvSA_SG_RKT3_T4_EUlifE0_EEvlNS_15PhiloxCudaStateESF_SG_ ; -- Begin function _ZN2at6native12_GLOBAL__N_143distribution_elementwise_grid_stride_kernelIfLi4EZNS0_9templates4cuda21uniform_and_transformIlfPNS_17CUDAGeneratorImplEZZZNS4_16geometric_kernelIS7_EEvRNS_18TensorIteratorBaseEdT_ENKUlvE_clEvENKUlvE2_clEvEUlfE_EEvSA_T1_T2_EUlP25hiprandStatePhilox4_32_10E_ZNS1_27distribution_nullary_kernelIlf15HIP_vector_typeIdLj2EES7_SJ_SE_EEvSA_SG_RKT3_T4_EUlifE0_EEvlNS_15PhiloxCudaStateESF_SG_
	.p2align	8
	.type	_ZN2at6native12_GLOBAL__N_143distribution_elementwise_grid_stride_kernelIfLi4EZNS0_9templates4cuda21uniform_and_transformIlfPNS_17CUDAGeneratorImplEZZZNS4_16geometric_kernelIS7_EEvRNS_18TensorIteratorBaseEdT_ENKUlvE_clEvENKUlvE2_clEvEUlfE_EEvSA_T1_T2_EUlP25hiprandStatePhilox4_32_10E_ZNS1_27distribution_nullary_kernelIlf15HIP_vector_typeIdLj2EES7_SJ_SE_EEvSA_SG_RKT3_T4_EUlifE0_EEvlNS_15PhiloxCudaStateESF_SG_,@function
_ZN2at6native12_GLOBAL__N_143distribution_elementwise_grid_stride_kernelIfLi4EZNS0_9templates4cuda21uniform_and_transformIlfPNS_17CUDAGeneratorImplEZZZNS4_16geometric_kernelIS7_EEvRNS_18TensorIteratorBaseEdT_ENKUlvE_clEvENKUlvE2_clEvEUlfE_EEvSA_T1_T2_EUlP25hiprandStatePhilox4_32_10E_ZNS1_27distribution_nullary_kernelIlf15HIP_vector_typeIdLj2EES7_SJ_SE_EEvSA_SG_RKT3_T4_EUlifE0_EEvlNS_15PhiloxCudaStateESF_SG_: ; @_ZN2at6native12_GLOBAL__N_143distribution_elementwise_grid_stride_kernelIfLi4EZNS0_9templates4cuda21uniform_and_transformIlfPNS_17CUDAGeneratorImplEZZZNS4_16geometric_kernelIS7_EEvRNS_18TensorIteratorBaseEdT_ENKUlvE_clEvENKUlvE2_clEvEUlfE_EEvSA_T1_T2_EUlP25hiprandStatePhilox4_32_10E_ZNS1_27distribution_nullary_kernelIlf15HIP_vector_typeIdLj2EES7_SJ_SE_EEvSA_SG_RKT3_T4_EUlifE0_EEvlNS_15PhiloxCudaStateESF_SG_
; %bb.0:
	s_load_dword s2, s[4:5], 0x20
	s_load_dwordx2 s[0:1], s[4:5], 0x10
	s_load_dwordx4 s[24:27], s[4:5], 0x0
	s_waitcnt lgkmcnt(0)
	s_bitcmp0_b32 s2, 0
	s_mov_b32 s2, 0
	v_pk_mov_b32 v[2:3], s[0:1], s[0:1] op_sel:[0,1]
	v_pk_mov_b32 v[10:11], s[26:27], s[26:27] op_sel:[0,1]
	s_cbranch_scc1 .LBB13_2
; %bb.1:
	v_pk_mov_b32 v[2:3], s[0:1], s[0:1] op_sel:[0,1]
	flat_load_dwordx2 v[2:3], v[2:3]
	v_pk_mov_b32 v[4:5], s[26:27], s[26:27] op_sel:[0,1]
	flat_load_dwordx2 v[10:11], v[4:5]
	s_load_dwordx2 s[0:1], s[4:5], 0x18
	s_waitcnt lgkmcnt(0)
	v_mov_b32_e32 v1, s1
	s_waitcnt vmcnt(0)
	v_add_co_u32_e32 v2, vcc, s0, v2
	v_addc_co_u32_e32 v3, vcc, v3, v1, vcc
.LBB13_2:
	s_load_dword s0, s[4:5], 0x154
	s_load_dword s7, s[4:5], 0x148
	s_waitcnt lgkmcnt(0)
	s_and_b32 s8, s0, 0xffff
	s_add_u32 s9, s24, -1
	s_mul_i32 s33, s7, s8
	s_addc_u32 s3, s25, -1
	s_lshl_b32 s58, s33, 2
	s_cmp_lg_u64 s[2:3], 0
	s_mov_b64 s[0:1], -1
	s_cbranch_scc0 .LBB13_83
; %bb.3:
	v_cvt_f32_u32_e32 v1, s58
	v_cvt_f32_ubyte0_e32 v4, 0
	s_sub_u32 s2, 0, s58
	s_subb_u32 s10, 0, 0
	v_madmk_f32 v1, v4, 0x4f800000, v1
	v_rcp_f32_e32 v1, v1
	v_mul_f32_e32 v1, 0x5f7ffffc, v1
	v_mul_f32_e32 v4, 0x2f800000, v1
	v_trunc_f32_e32 v4, v4
	v_madmk_f32 v1, v4, 0xcf800000, v1
	v_cvt_u32_f32_e32 v4, v4
	v_cvt_u32_f32_e32 v1, v1
	v_readfirstlane_b32 s11, v4
	v_readfirstlane_b32 s12, v1
	s_mul_i32 s13, s2, s11
	s_mul_hi_u32 s15, s2, s12
	s_mul_i32 s14, s10, s12
	s_add_i32 s13, s15, s13
	s_add_i32 s13, s13, s14
	s_mul_i32 s16, s2, s12
	s_mul_hi_u32 s14, s12, s13
	s_mul_i32 s15, s12, s13
	s_mul_hi_u32 s12, s12, s16
	s_add_u32 s12, s12, s15
	s_addc_u32 s14, 0, s14
	s_mul_hi_u32 s17, s11, s16
	s_mul_i32 s16, s11, s16
	s_add_u32 s12, s12, s16
	s_mul_hi_u32 s15, s11, s13
	s_addc_u32 s12, s14, s17
	s_addc_u32 s14, s15, 0
	s_mul_i32 s13, s11, s13
	s_add_u32 s12, s12, s13
	s_addc_u32 s13, 0, s14
	v_add_co_u32_e32 v1, vcc, s12, v1
	s_cmp_lg_u64 vcc, 0
	s_addc_u32 s11, s11, s13
	v_readfirstlane_b32 s13, v1
	s_mul_i32 s12, s2, s11
	s_mul_hi_u32 s14, s2, s13
	s_add_i32 s12, s14, s12
	s_mul_i32 s10, s10, s13
	s_add_i32 s12, s12, s10
	s_mul_i32 s2, s2, s13
	s_mul_hi_u32 s14, s11, s2
	s_mul_i32 s15, s11, s2
	s_mul_i32 s17, s13, s12
	s_mul_hi_u32 s2, s13, s2
	s_mul_hi_u32 s16, s13, s12
	s_add_u32 s2, s2, s17
	s_addc_u32 s13, 0, s16
	s_add_u32 s2, s2, s15
	s_mul_hi_u32 s10, s11, s12
	s_addc_u32 s2, s13, s14
	s_addc_u32 s10, s10, 0
	s_mul_i32 s12, s11, s12
	s_add_u32 s2, s2, s12
	s_addc_u32 s10, 0, s10
	v_add_co_u32_e32 v1, vcc, s2, v1
	s_cmp_lg_u64 vcc, 0
	s_addc_u32 s12, s11, s10
	s_ashr_i32 s10, s3, 31
	s_add_u32 s2, s9, s10
	s_mov_b32 s11, s10
	s_addc_u32 s3, s3, s10
	s_xor_b64 s[2:3], s[2:3], s[10:11]
	v_readfirstlane_b32 s15, v1
	s_mul_i32 s14, s2, s12
	s_mul_hi_u32 s16, s2, s15
	s_mul_hi_u32 s13, s2, s12
	s_add_u32 s14, s16, s14
	s_addc_u32 s13, 0, s13
	s_mul_hi_u32 s17, s3, s15
	s_mul_i32 s15, s3, s15
	s_add_u32 s14, s14, s15
	s_mul_hi_u32 s16, s3, s12
	s_addc_u32 s13, s13, s17
	s_addc_u32 s14, s16, 0
	s_mul_i32 s12, s3, s12
	s_add_u32 s12, s13, s12
	s_addc_u32 s13, 0, s14
	s_add_u32 s14, s12, 1
	s_addc_u32 s15, s13, 0
	s_add_u32 s16, s12, 2
	s_mul_i32 s18, s58, s13
	s_mul_hi_u32 s19, s58, s12
	s_addc_u32 s17, s13, 0
	s_add_i32 s19, s19, s18
	s_mul_i32 s18, s58, s12
	v_mov_b32_e32 v1, s18
	v_sub_co_u32_e32 v1, vcc, s2, v1
	s_cmp_lg_u64 vcc, 0
	s_subb_u32 s2, s3, s19
	v_subrev_co_u32_e32 v4, vcc, s58, v1
	s_cmp_lg_u64 vcc, 0
	s_subb_u32 s3, s2, 0
	v_readfirstlane_b32 s18, v4
	s_cmp_ge_u32 s18, s58
	s_cselect_b32 s18, -1, 0
	s_cmp_eq_u32 s3, 0
	s_cselect_b32 s3, s18, -1
	s_cmp_lg_u32 s3, 0
	s_cselect_b32 s3, s17, s15
	v_readfirstlane_b32 s15, v1
	s_cselect_b32 s14, s16, s14
	s_cmp_ge_u32 s15, s58
	s_cselect_b32 s15, -1, 0
	s_cmp_eq_u32 s2, 0
	s_cselect_b32 s2, s15, -1
	s_cmp_lg_u32 s2, 0
	s_cselect_b32 s3, s3, s13
	s_cselect_b32 s2, s14, s12
	s_xor_b64 s[2:3], s[2:3], s[10:11]
	s_sub_u32 s2, s2, s10
	s_subb_u32 s3, s3, s10
	s_cbranch_execnz .LBB13_5
.LBB13_4:
	v_cvt_f32_u32_e32 v1, s58
	s_sub_i32 s0, 0, s58
	s_mov_b32 s3, 0
	v_rcp_iflag_f32_e32 v1, v1
	v_mul_f32_e32 v1, 0x4f7ffffe, v1
	v_cvt_u32_f32_e32 v1, v1
	v_readfirstlane_b32 s1, v1
	s_mul_i32 s0, s0, s1
	s_mul_hi_u32 s0, s1, s0
	s_add_i32 s1, s1, s0
	s_mul_hi_u32 s0, s9, s1
	s_mul_i32 s2, s0, s58
	s_sub_i32 s2, s9, s2
	s_add_i32 s1, s0, 1
	s_sub_i32 s9, s2, s58
	s_cmp_ge_u32 s2, s58
	s_cselect_b32 s0, s1, s0
	s_cselect_b32 s2, s9, s2
	s_add_i32 s1, s0, 1
	s_cmp_ge_u32 s2, s58
	s_cselect_b32 s2, s1, s0
.LBB13_5:
	v_mov_b32_e32 v1, 0
	v_mov_b32_e32 v4, s6
	v_mad_u64_u32 v[12:13], s[0:1], s8, v4, v[0:1]
	s_add_u32 s0, s2, 1
	s_addc_u32 s1, s3, 0
	s_mul_hi_u32 s2, s7, s8
	s_mul_i32 s1, s33, s1
	s_mul_hi_u32 s3, s33, s0
	s_add_i32 s1, s3, s1
	s_mul_i32 s2, s2, s0
	s_add_i32 s1, s1, s2
	s_mul_i32 s0, s33, s0
	s_lshl_b64 s[26:27], s[0:1], 2
	v_cmp_gt_i64_e32 vcc, s[26:27], v[12:13]
	s_and_saveexec_b64 s[0:1], vcc
	s_cbranch_execz .LBB13_82
; %bb.6:
	s_mov_b32 s0, 0x5384540f
	v_mov_b32_e32 v0, v11
	v_add_co_u32_e32 v22, vcc, s0, v10
	s_mov_b32 s0, 0x646e171e
	v_add_co_u32_e32 v23, vcc, s0, v0
	s_mov_b32 s0, 0x1715609d
	;; [unrolled: 2-line block ×6, first 2 shown]
	v_alignbit_b32 v29, v3, v2, 2
	s_mov_b32 s60, 0xd2511f53
	v_add_co_u32_e32 v28, vcc, s0, v10
	v_mad_u64_u32 v[4:5], s[0:1], v29, s60, 0
	v_xor_b32_e32 v1, v5, v11
	v_xor_b32_e32 v1, v1, v13
	s_mov_b32 s61, 0xcd9e8d57
	v_mad_u64_u32 v[6:7], s[0:1], v1, s61, 0
	v_xor_b32_e32 v1, v28, v7
	v_mad_u64_u32 v[8:9], s[0:1], v12, s61, 0
	v_and_b32_e32 v18, 3, v2
	v_xor_b32_e32 v1, v1, v8
	v_xor_b32_e32 v2, v10, v9
	v_lshrrev_b32_e32 v30, 2, v3
	v_mad_u64_u32 v[14:15], s[0:1], v1, s60, 0
	v_xor_b32_e32 v2, v2, v30
	v_xor_b32_e32 v1, v27, v15
	v_mad_u64_u32 v[2:3], s[0:1], v2, s60, 0
	v_xor_b32_e32 v1, v1, v2
	v_mad_u64_u32 v[8:9], s[0:1], v1, s61, 0
	s_mov_b32 s0, 0xbb67ae85
	v_add_co_u32_e32 v31, vcc, s0, v0
	v_xor_b32_e32 v2, v31, v3
	v_xor_b32_e32 v2, v2, v4
	v_xor_b32_e32 v1, v26, v9
	v_mad_u64_u32 v[2:3], s[0:1], v2, s61, 0
	v_xor_b32_e32 v1, v1, v2
	v_mad_u64_u32 v[4:5], s[0:1], v1, s60, 0
	s_mov_b32 s0, 0x3c6ef372
	v_add_co_u32_e32 v32, vcc, s0, v10
	v_xor_b32_e32 v2, v32, v3
	;; [unrolled: 8-line block ×6, first 2 shown]
	v_add_co_u32_e32 v21, vcc, 0xdb3d7428, v0
	v_xor_b32_e32 v2, v2, v6
	v_xor_b32_e32 v1, v21, v17
	v_mad_u64_u32 v[2:3], s[0:1], v2, s60, 0
	v_xor_b32_e32 v1, v1, v2
	v_mad_u64_u32 v[40:41], s[0:1], v1, s61, 0
	s_mov_b32 s0, 0x1fd5c5a3
	v_add_co_u32_e32 v37, vcc, s0, v0
	v_xor_b32_e32 v0, v37, v3
	v_xor_b32_e32 v0, v0, v14
	s_load_dwordx2 s[44:45], s[4:5], 0xf4
	s_load_dwordx4 s[28:31], s[4:5], 0x138
	v_mad_u64_u32 v[0:1], s[0:1], v0, s61, 0
	s_mov_b32 s0, 0xf1bbcdc8
	v_add_u32_e32 v19, 0x8ff34781, v10
	v_xor_b32_e32 v0, v41, v0
	v_add_co_u32_e32 v38, vcc, s0, v10
	v_xor_b32_e32 v4, v19, v0
	v_xor_b32_e32 v0, v38, v1
	;; [unrolled: 1-line block ×3, first 2 shown]
	s_waitcnt lgkmcnt(0)
	v_cvt_f32_f64_e32 v2, s[30:31]
	v_mad_u64_u32 v[0:1], s[0:1], v0, s60, 0
	v_sub_f32_e32 v3, 1.0, v2
	v_add_u32_e32 v20, 0x96a522ad, v11
	v_xor_b32_e32 v1, v1, v16
	v_mov_b32_e32 v7, v0
	v_add_f32_e32 v0, -1.0, v3
	v_xor_b32_e32 v6, v20, v1
	v_sub_f32_e32 v1, v0, v3
	v_add_f32_e32 v1, 1.0, v1
	v_sub_f32_e64 v0, -v2, v0
	v_add_f32_e32 v8, v0, v1
	v_frexp_mant_f32_e32 v9, v3
	s_mov_b32 s2, 0x3f2aaaab
	v_cvt_f64_f32_e32 v[0:1], v3
	v_frexp_exp_i32_f64_e32 v0, v[0:1]
	v_cmp_gt_f32_e32 vcc, s2, v9
	v_subbrev_co_u32_e32 v0, vcc, 0, v0, vcc
	v_sub_u32_e32 v1, 0, v0
	v_ldexp_f32 v3, v3, v1
	v_ldexp_f32 v1, v8, v1
	v_add_f32_e32 v8, -1.0, v3
	v_add_f32_e32 v15, 1.0, v3
	v_add_f32_e32 v9, 1.0, v8
	v_add_f32_e32 v16, -1.0, v15
	v_sub_f32_e32 v9, v3, v9
	v_sub_f32_e32 v3, v3, v16
	v_add_f32_e32 v9, v1, v9
	v_add_f32_e32 v1, v1, v3
	;; [unrolled: 1-line block ×3, first 2 shown]
	v_rcp_f32_e32 v16, v3
	v_add_f32_e32 v14, v8, v9
	v_sub_f32_e32 v8, v14, v8
	v_sub_f32_e32 v8, v9, v8
	;; [unrolled: 1-line block ×4, first 2 shown]
	v_mul_f32_e32 v9, v14, v16
	v_mul_f32_e32 v15, v3, v9
	v_fma_f32 v17, v9, v3, -v15
	v_fmac_f32_e32 v17, v9, v1
	v_add_f32_e32 v39, v15, v17
	v_mov_b32_e32 v5, v40
	v_sub_f32_e32 v40, v14, v39
	v_sub_f32_e32 v14, v14, v40
	;; [unrolled: 1-line block ×4, first 2 shown]
	v_add_f32_e32 v8, v8, v14
	v_sub_f32_e32 v14, v15, v17
	v_add_f32_e32 v8, v14, v8
	v_add_f32_e32 v14, v40, v8
	v_mul_f32_e32 v15, v16, v14
	v_mul_f32_e32 v17, v3, v15
	v_fma_f32 v3, v15, v3, -v17
	v_fmac_f32_e32 v3, v15, v1
	v_sub_f32_e32 v1, v40, v14
	v_add_f32_e32 v1, v8, v1
	v_add_f32_e32 v8, v17, v3
	v_sub_f32_e32 v39, v14, v8
	v_sub_f32_e32 v14, v14, v39
	;; [unrolled: 1-line block ×4, first 2 shown]
	v_add_f32_e32 v1, v1, v8
	v_sub_f32_e32 v3, v17, v3
	v_add_f32_e32 v1, v3, v1
	v_add_f32_e32 v3, v9, v15
	;; [unrolled: 1-line block ×3, first 2 shown]
	v_sub_f32_e32 v8, v3, v9
	v_mul_f32_e32 v1, v16, v1
	v_sub_f32_e32 v8, v15, v8
	v_add_f32_e32 v1, v8, v1
	v_cvt_f32_i32_e32 v0, v0
	v_add_f32_e32 v8, v3, v1
	v_mul_f32_e32 v9, v8, v8
	v_mov_b32_e32 v14, 0x3ecc95a3
	v_fmac_f32_e32 v14, 0x3e9b6dac, v9
	v_mov_b32_e32 v15, 0x3f2aaada
	v_fmac_f32_e32 v15, v9, v14
	s_mov_b32 s2, 0x3f317218
	v_mul_f32_e32 v14, 0x3f317218, v0
	v_fma_f32 v16, v0, s2, -v14
	v_fmac_f32_e32 v16, 0xb102e308, v0
	v_sub_f32_e32 v0, v8, v3
	v_sub_f32_e32 v0, v1, v0
	v_add_f32_e32 v1, v14, v16
	v_sub_f32_e32 v3, v1, v14
	v_ldexp_f32 v14, v8, 1
	v_mul_f32_e32 v8, v8, v9
	v_mul_f32_e32 v8, v8, v15
	v_add_f32_e32 v9, v14, v8
	v_sub_f32_e32 v14, v9, v14
	v_ldexp_f32 v0, v0, 1
	v_sub_f32_e32 v8, v8, v14
	v_add_f32_e32 v0, v0, v8
	v_add_f32_e32 v8, v9, v0
	v_sub_f32_e32 v9, v8, v9
	v_sub_f32_e32 v0, v0, v9
	v_add_f32_e32 v9, v1, v8
	v_sub_f32_e32 v14, v9, v1
	v_sub_f32_e32 v15, v9, v14
	;; [unrolled: 1-line block ×5, first 2 shown]
	v_add_f32_e32 v1, v8, v1
	v_add_f32_e32 v8, v3, v0
	v_sub_f32_e32 v14, v8, v3
	v_sub_f32_e32 v15, v8, v14
	;; [unrolled: 1-line block ×4, first 2 shown]
	v_add_f32_e32 v1, v8, v1
	v_add_f32_e32 v0, v0, v3
	;; [unrolled: 1-line block ×3, first 2 shown]
	s_load_dwordx8 s[8:15], s[4:5], 0x30
	v_sub_f32_e32 v8, v3, v9
	v_sub_f32_e32 v1, v1, v8
	v_add_f32_e32 v0, v0, v1
	s_mov_b32 s2, 0xff800000
	v_add_f32_e32 v0, v3, v0
	v_cmp_eq_f32_e32 vcc, s2, v2
	s_add_u32 s34, s4, 48
	v_cndmask_b32_e64 v0, v0, -v2, vcc
	v_mov_b32_e32 v1, 0x7fc00000
	v_cmp_nlt_f32_e32 vcc, 1.0, v2
	s_addc_u32 s35, s5, 0
	s_waitcnt lgkmcnt(0)
	s_add_i32 s0, s8, -1
	v_cndmask_b32_e32 v0, v1, v0, vcc
	v_mov_b32_e32 v1, 0xff800000
	v_cmp_neq_f32_e32 vcc, 1.0, v2
	s_cmp_gt_u32 s0, 1
	v_cndmask_b32_e32 v0, v1, v0, vcc
	v_log_f32_e32 v1, s0
	s_cselect_b64 s[40:41], -1, 0
	s_cmp_lg_u32 s8, 0
	s_cselect_b64 s[42:43], -1, 0
	s_add_u32 s46, s4, 0xf4
	s_mov_b32 s2, 0x33800000
	s_addc_u32 s47, s5, 0
	s_min_u32 s1, s0, 15
	v_cmp_lt_f32_e64 s[2:3], |v2|, s2
	s_cmp_gt_u32 s8, 1
	v_cndmask_b32_e64 v39, v0, -v2, s[2:3]
	s_mov_b32 s8, 0x3f317217
	v_mul_f32_e32 v0, 0x3f317217, v1
	v_fma_f32 v2, v1, s8, -v0
	v_fmac_f32_e32 v2, 0x3377d1cf, v1
	s_mov_b32 s15, 0x7f800000
	v_add_f32_e32 v0, v0, v2
	v_cmp_lt_f32_e64 vcc, |v1|, s15
	v_cndmask_b32_e32 v0, v1, v0, vcc
	v_div_scale_f32 v1, s[2:3], v39, v39, v0
	v_rcp_f32_e32 v2, v1
	s_mov_b32 s63, 0x2f800000
	s_mov_b32 s64, 0xcf800000
	s_cselect_b64 s[30:31], -1, 0
	v_fma_f32 v3, -v1, v2, 1.0
	v_fmac_f32_e32 v2, v3, v2
	v_div_scale_f32 v3, vcc, v0, v39, v0
	v_mul_f32_e32 v8, v3, v2
	v_fma_f32 v9, -v1, v8, v3
	v_fmac_f32_e32 v8, v9, v2
	v_fma_f32 v1, -v1, v8, v3
	v_div_fmas_f32 v1, v1, v2, v8
	v_div_fixup_f32 v0, v1, v39, v0
	v_ceil_f32_e32 v0, v0
	v_mul_f32_e64 v1, |v0|, s63
	v_floor_f32_e32 v1, v1
	v_fma_f32 v2, v1, s64, |v0|
	v_cvt_u32_f32_e32 v2, v2
	v_cvt_u32_f32_e32 v1, v1
	s_add_i32 s1, s1, 1
	s_lshl_b32 s62, s33, 1
	s_and_b32 s68, s1, 3
	v_ashrrev_i32_e32 v0, 31, v0
	s_cmp_lg_u32 s0, 2
	v_xor_b32_e32 v2, v2, v0
	s_cselect_b64 s[48:49], -1, 0
	s_and_b32 s69, s1, 28
	s_mov_b32 s59, 0
	v_xor_b32_e32 v1, v1, v0
	v_sub_co_u32_e32 v14, vcc, v2, v0
	s_cmp_lg_u32 s68, 0
	s_mov_b32 s65, s59
	v_subb_co_u32_e32 v15, vcc, v1, v0, vcc
	s_mul_i32 s66, s33, 3
	s_mov_b32 s67, s59
	s_mov_b64 s[50:51], 0
	s_cselect_b64 s[52:53], -1, 0
	s_mov_b32 s70, 0x800000
	v_mov_b32_e32 v40, 0x4f800000
	v_mov_b32_e32 v41, 0x41b17218
	;; [unrolled: 1-line block ×4, first 2 shown]
	s_branch .LBB13_9
.LBB13_7:                               ;   in Loop: Header=BB13_9 Depth=1
	global_store_dwordx2 v6, v[14:15], s[28:29]
.LBB13_8:                               ;   in Loop: Header=BB13_9 Depth=1
	s_or_b64 exec, exec, s[36:37]
	v_add_co_u32_e32 v12, vcc, s58, v12
	v_mov_b32_e32 v3, v16
	v_addc_co_u32_e32 v13, vcc, 0, v13, vcc
	v_cmp_le_i64_e32 vcc, s[26:27], v[12:13]
	v_pk_mov_b32 v[6:7], v[2:3], v[2:3] op_sel:[0,1]
	s_or_b64 s[50:51], vcc, s[50:51]
	v_pk_mov_b32 v[4:5], v[0:1], v[0:1] op_sel:[0,1]
	s_barrier
	s_andn2_b64 exec, exec, s[50:51]
	s_cbranch_execz .LBB13_82
.LBB13_9:                               ; =>This Loop Header: Depth=1
                                        ;     Child Loop BB13_24 Depth 2
                                        ;     Child Loop BB13_30 Depth 2
	;; [unrolled: 1-line block ×8, first 2 shown]
	v_add_co_u32_e32 v29, vcc, 1, v29
	v_cndmask_b32_e64 v0, 0, 1, vcc
	v_addc_co_u32_e32 v30, vcc, 0, v30, vcc
	v_cmp_eq_u32_e32 vcc, 0, v30
	v_cndmask_b32_e32 v0, 0, v0, vcc
	v_add_u32_e32 v42, v0, v42
	v_cmp_eq_u32_e32 vcc, 0, v42
	v_cndmask_b32_e32 v0, 0, v0, vcc
	v_add_u32_e32 v43, v0, v43
	v_mad_u64_u32 v[0:1], s[0:1], v29, s60, 0
	v_mad_u64_u32 v[2:3], s[0:1], v42, s61, 0
	v_xor_b32_e32 v1, v1, v11
	v_xor_b32_e32 v3, v3, v10
	v_xor_b32_e32 v1, v43, v1
	v_xor_b32_e32 v3, v30, v3
	v_mad_u64_u32 v[16:17], s[0:1], v1, s61, 0
	v_mad_u64_u32 v[8:9], s[0:1], v3, s60, 0
	v_xor_b32_e32 v1, v28, v17
	v_xor_b32_e32 v1, v1, v2
	v_xor_b32_e32 v2, v31, v9
	v_xor_b32_e32 v2, v2, v0
	;; [unrolled: 6-line block ×10, first 2 shown]
	v_mov_b32_e32 v1, v8
	v_mov_b32_e32 v2, v9
	v_cmp_lt_i32_e32 vcc, 1, v18
	s_and_saveexec_b64 s[0:1], vcc
	s_xor_b64 s[0:1], exec, s[0:1]
	s_cbranch_execz .LBB13_15
; %bb.10:                               ;   in Loop: Header=BB13_9 Depth=1
	v_cmp_lt_i32_e32 vcc, 2, v18
	s_and_saveexec_b64 s[2:3], vcc
	s_xor_b64 s[2:3], exec, s[2:3]
; %bb.11:                               ;   in Loop: Header=BB13_9 Depth=1
	v_mov_b32_e32 v6, v7
	v_mov_b32_e32 v7, v0
	v_pk_mov_b32 v[4:5], v[6:7], v[6:7] op_sel:[0,1]
	v_pk_mov_b32 v[6:7], v[8:9], v[8:9] op_sel:[0,1]
                                        ; implicit-def: $vgpr8_vgpr9
; %bb.12:                               ;   in Loop: Header=BB13_9 Depth=1
	s_andn2_saveexec_b64 s[2:3], s[2:3]
; %bb.13:                               ;   in Loop: Header=BB13_9 Depth=1
	v_mov_b32_e32 v4, v6
	v_mov_b32_e32 v5, v7
	;; [unrolled: 1-line block ×4, first 2 shown]
; %bb.14:                               ;   in Loop: Header=BB13_9 Depth=1
	s_or_b64 exec, exec, s[2:3]
.LBB13_15:                              ;   in Loop: Header=BB13_9 Depth=1
	s_andn2_saveexec_b64 s[0:1], s[0:1]
	s_cbranch_execz .LBB13_19
; %bb.16:                               ;   in Loop: Header=BB13_9 Depth=1
	v_cmp_eq_u32_e32 vcc, 1, v18
	s_and_saveexec_b64 s[2:3], vcc
; %bb.17:                               ;   in Loop: Header=BB13_9 Depth=1
	v_mov_b32_e32 v4, v5
	v_mov_b32_e32 v5, v6
	;; [unrolled: 1-line block ×4, first 2 shown]
; %bb.18:                               ;   in Loop: Header=BB13_9 Depth=1
	s_or_b64 exec, exec, s[2:3]
.LBB13_19:                              ;   in Loop: Header=BB13_9 Depth=1
	s_or_b64 exec, exec, s[0:1]
	v_cndmask_b32_e64 v3, 0, 1, s[40:41]
	v_cmp_gt_i64_e32 vcc, s[24:25], v[12:13]
	v_cmp_ne_u32_e64 s[0:1], 1, v3
	s_and_saveexec_b64 s[54:55], vcc
	s_cbranch_execz .LBB13_35
; %bb.20:                               ;   in Loop: Header=BB13_9 Depth=1
	s_and_b64 vcc, exec, s[0:1]
	s_cbranch_vccnz .LBB13_26
; %bb.21:                               ;   in Loop: Header=BB13_9 Depth=1
	s_andn2_b64 vcc, exec, s[42:43]
	s_cbranch_vccnz .LBB13_27
; %bb.22:                               ;   in Loop: Header=BB13_9 Depth=1
	s_mov_b32 s4, 0
	s_andn2_b64 vcc, exec, s[48:49]
	v_mov_b32_e32 v8, 0
	s_cbranch_vccnz .LBB13_28
; %bb.23:                               ;   in Loop: Header=BB13_9 Depth=1
	s_mov_b32 s71, 0
	v_mov_b32_e32 v8, 0
	s_mov_b64 s[2:3], s[34:35]
	s_mov_b64 s[56:57], s[46:47]
	v_mov_b32_e32 v3, v12
.LBB13_24:                              ;   Parent Loop BB13_9 Depth=1
                                        ; =>  This Inner Loop Header: Depth=2
	s_load_dwordx8 s[16:23], s[2:3], 0x4
	s_load_dwordx4 s[4:7], s[2:3], 0x24
	s_load_dwordx4 s[36:39], s[56:57], 0x0
	s_add_u32 s2, s2, 48
	s_addc_u32 s3, s3, 0
	s_waitcnt lgkmcnt(0)
	v_mul_hi_u32 v9, s17, v3
	v_add_u32_e32 v9, v3, v9
	v_lshrrev_b32_e32 v9, s18, v9
	v_mul_lo_u32 v17, v9, s16
	v_mul_hi_u32 v44, s20, v9
	v_sub_u32_e32 v3, v3, v17
	v_add_u32_e32 v17, v9, v44
	v_lshrrev_b32_e32 v17, s21, v17
	v_mul_lo_u32 v44, v17, s19
	v_mul_hi_u32 v45, s23, v17
	v_sub_u32_e32 v9, v9, v44
	v_add_u32_e32 v44, v17, v45
	v_mul_lo_u32 v3, v3, s36
	v_mul_lo_u32 v9, v9, s37
	v_lshrrev_b32_e32 v44, s4, v44
	v_add3_u32 v8, v3, v8, v9
	v_mul_lo_u32 v3, v44, s22
	v_mul_hi_u32 v9, s6, v44
	v_sub_u32_e32 v3, v17, v3
	v_add_u32_e32 v9, v44, v9
	v_mul_lo_u32 v17, v3, s38
	v_lshrrev_b32_e32 v3, s7, v9
	s_add_i32 s71, s71, 4
	v_mul_lo_u32 v9, v3, s5
	s_add_u32 s56, s56, 16
	v_sub_u32_e32 v9, v44, v9
	s_addc_u32 s57, s57, 0
	v_mul_lo_u32 v9, v9, s39
	s_cmp_lg_u32 s69, s71
	v_add3_u32 v8, v17, v8, v9
	s_cbranch_scc1 .LBB13_24
; %bb.25:                               ;   in Loop: Header=BB13_9 Depth=1
	s_mov_b32 s4, s69
	s_andn2_b64 vcc, exec, s[52:53]
	s_cbranch_vccz .LBB13_29
	s_branch .LBB13_31
.LBB13_26:                              ;   in Loop: Header=BB13_9 Depth=1
                                        ; implicit-def: $vgpr8
	s_branch .LBB13_32
.LBB13_27:                              ;   in Loop: Header=BB13_9 Depth=1
	v_mov_b32_e32 v8, 0
	s_branch .LBB13_31
.LBB13_28:                              ;   in Loop: Header=BB13_9 Depth=1
	v_mov_b32_e32 v3, v12
	s_andn2_b64 vcc, exec, s[52:53]
	s_cbranch_vccnz .LBB13_31
.LBB13_29:                              ;   in Loop: Header=BB13_9 Depth=1
	s_lshl_b32 s2, s4, 2
	s_add_u32 s2, s46, s2
	s_addc_u32 s3, s47, 0
	s_mul_i32 s4, s4, 12
	s_add_u32 s4, s34, s4
	s_addc_u32 s5, s35, 0
	s_mov_b32 s6, s68
.LBB13_30:                              ;   Parent Loop BB13_9 Depth=1
                                        ; =>  This Inner Loop Header: Depth=2
	s_load_dwordx2 s[16:17], s[4:5], 0x4
	s_load_dword s7, s[4:5], 0xc
	s_load_dword s18, s[2:3], 0x0
	s_add_u32 s4, s4, 12
	s_addc_u32 s5, s5, 0
	s_waitcnt lgkmcnt(0)
	v_mul_hi_u32 v9, s17, v3
	v_add_u32_e32 v9, v3, v9
	v_lshrrev_b32_e32 v9, s7, v9
	s_add_u32 s2, s2, 4
	v_mul_lo_u32 v17, v9, s16
	s_addc_u32 s3, s3, 0
	s_add_i32 s6, s6, -1
	v_sub_u32_e32 v17, v3, v17
	s_cmp_lg_u32 s6, 0
	v_mov_b32_e32 v3, v9
	v_mad_u64_u32 v[8:9], s[16:17], v17, s18, v[8:9]
	s_cbranch_scc1 .LBB13_30
.LBB13_31:                              ;   in Loop: Header=BB13_9 Depth=1
	s_cbranch_execnz .LBB13_34
.LBB13_32:                              ;   in Loop: Header=BB13_9 Depth=1
	v_mul_hi_u32 v3, v12, s10
	v_add_u32_e32 v3, v3, v12
	v_lshrrev_b32_e32 v3, s11, v3
	v_mul_lo_u32 v8, v3, s9
	v_sub_u32_e32 v8, v12, v8
	s_andn2_b64 vcc, exec, s[30:31]
	v_mul_lo_u32 v8, v8, s44
	s_cbranch_vccnz .LBB13_34
; %bb.33:                               ;   in Loop: Header=BB13_9 Depth=1
	v_mul_hi_u32 v9, s13, v3
	v_add_u32_e32 v9, v3, v9
	v_lshrrev_b32_e32 v9, s14, v9
	v_mul_lo_u32 v9, v9, s12
	v_sub_u32_e32 v3, v3, v9
	v_mad_u64_u32 v[8:9], s[2:3], v3, s45, v[8:9]
.LBB13_34:                              ;   in Loop: Header=BB13_9 Depth=1
	v_lshrrev_b32_e32 v3, 11, v5
	v_cvt_f64_u32_e32 v[44:45], v3
	v_ldexp_f64 v[44:45], v[44:45], 32
	v_cvt_f64_u32_e32 v[4:5], v4
	v_add_f64 v[4:5], v[44:45], v[4:5]
	v_mov_b32_e32 v44, 0
	v_mov_b32_e32 v45, 0x3ca00000
	v_fmac_f64_e32 v[44:45], 0x3ca00000, v[4:5]
	v_cvt_f32_f64_e32 v3, v[44:45]
	v_cmp_gt_f32_e32 vcc, s70, v3
	v_cndmask_b32_e32 v4, 1.0, v40, vcc
	v_mul_f32_e32 v3, v3, v4
	v_log_f32_e32 v3, v3
	v_mul_f32_e32 v4, 0x3f317217, v3
	v_fma_f32 v5, v3, s8, -v4
	v_fmac_f32_e32 v5, 0x3377d1cf, v3
	v_add_f32_e32 v4, v4, v5
	v_cmp_lt_f32_e64 s[2:3], |v3|, s15
	v_cndmask_b32_e64 v3, v3, v4, s[2:3]
	v_cndmask_b32_e32 v4, 0, v41, vcc
	v_sub_f32_e32 v3, v3, v4
	v_div_scale_f32 v4, s[2:3], v39, v39, v3
	v_rcp_f32_e32 v5, v4
	v_fma_f32 v9, -v4, v5, 1.0
	v_fmac_f32_e32 v5, v9, v5
	v_div_scale_f32 v9, vcc, v3, v39, v3
	v_mul_f32_e32 v17, v9, v5
	v_fma_f32 v44, -v4, v17, v9
	v_fmac_f32_e32 v17, v44, v5
	v_fma_f32 v4, -v4, v17, v9
	v_div_fmas_f32 v4, v4, v5, v17
	v_div_fixup_f32 v3, v4, v39, v3
	v_ceil_f32_e32 v3, v3
	v_mul_f32_e64 v4, |v3|, s63
	v_floor_f32_e32 v4, v4
	v_fma_f32 v5, v4, s64, |v3|
	v_cvt_u32_f32_e32 v4, v4
	v_cvt_u32_f32_e32 v5, v5
	v_ashrrev_i32_e32 v3, 31, v3
	v_xor_b32_e32 v9, v4, v3
	v_xor_b32_e32 v4, v5, v3
	v_sub_co_u32_e32 v4, vcc, v4, v3
	v_subb_co_u32_e32 v5, vcc, v9, v3, vcc
	global_store_dwordx2 v8, v[4:5], s[28:29]
.LBB13_35:                              ;   in Loop: Header=BB13_9 Depth=1
	s_or_b64 exec, exec, s[54:55]
	v_mov_b32_e32 v3, s59
	v_add_co_u32_e32 v8, vcc, s33, v12
	v_addc_co_u32_e32 v9, vcc, v13, v3, vcc
	v_cmp_gt_i64_e32 vcc, s[24:25], v[8:9]
	s_and_saveexec_b64 s[54:55], vcc
	s_cbranch_execz .LBB13_51
; %bb.36:                               ;   in Loop: Header=BB13_9 Depth=1
	s_and_b64 vcc, exec, s[0:1]
	s_cbranch_vccnz .LBB13_42
; %bb.37:                               ;   in Loop: Header=BB13_9 Depth=1
	s_andn2_b64 vcc, exec, s[42:43]
	s_cbranch_vccnz .LBB13_43
; %bb.38:                               ;   in Loop: Header=BB13_9 Depth=1
	s_mov_b32 s4, 0
	s_andn2_b64 vcc, exec, s[48:49]
	v_mov_b32_e32 v4, 0
	s_cbranch_vccnz .LBB13_44
; %bb.39:                               ;   in Loop: Header=BB13_9 Depth=1
	s_mov_b32 s71, 0
	v_mov_b32_e32 v4, 0
	s_mov_b64 s[2:3], s[34:35]
	s_mov_b64 s[56:57], s[46:47]
	v_mov_b32_e32 v3, v8
.LBB13_40:                              ;   Parent Loop BB13_9 Depth=1
                                        ; =>  This Inner Loop Header: Depth=2
	s_load_dwordx8 s[16:23], s[2:3], 0x4
	s_load_dwordx4 s[4:7], s[2:3], 0x24
	s_load_dwordx4 s[36:39], s[56:57], 0x0
	s_add_u32 s2, s2, 48
	s_addc_u32 s3, s3, 0
	s_waitcnt lgkmcnt(0)
	v_mul_hi_u32 v5, s17, v3
	v_add_u32_e32 v5, v3, v5
	v_lshrrev_b32_e32 v5, s18, v5
	v_mul_lo_u32 v9, v5, s16
	v_mul_hi_u32 v17, s20, v5
	v_sub_u32_e32 v3, v3, v9
	v_add_u32_e32 v9, v5, v17
	v_lshrrev_b32_e32 v9, s21, v9
	v_mul_lo_u32 v17, v9, s19
	v_mul_hi_u32 v44, s23, v9
	v_sub_u32_e32 v5, v5, v17
	v_add_u32_e32 v17, v9, v44
	v_mul_lo_u32 v3, v3, s36
	v_mul_lo_u32 v5, v5, s37
	v_lshrrev_b32_e32 v17, s4, v17
	v_add3_u32 v4, v3, v4, v5
	v_mul_lo_u32 v3, v17, s22
	v_mul_hi_u32 v5, s6, v17
	v_sub_u32_e32 v3, v9, v3
	v_add_u32_e32 v5, v17, v5
	v_mul_lo_u32 v9, v3, s38
	v_lshrrev_b32_e32 v3, s7, v5
	s_add_i32 s71, s71, 4
	v_mul_lo_u32 v5, v3, s5
	s_add_u32 s56, s56, 16
	v_sub_u32_e32 v5, v17, v5
	s_addc_u32 s57, s57, 0
	v_mul_lo_u32 v5, v5, s39
	s_cmp_eq_u32 s69, s71
	v_add3_u32 v4, v9, v4, v5
	s_cbranch_scc0 .LBB13_40
; %bb.41:                               ;   in Loop: Header=BB13_9 Depth=1
	s_mov_b32 s4, s69
	s_andn2_b64 vcc, exec, s[52:53]
	s_cbranch_vccz .LBB13_45
	s_branch .LBB13_47
.LBB13_42:                              ;   in Loop: Header=BB13_9 Depth=1
                                        ; implicit-def: $vgpr4
	s_branch .LBB13_48
.LBB13_43:                              ;   in Loop: Header=BB13_9 Depth=1
	v_mov_b32_e32 v4, 0
	s_branch .LBB13_47
.LBB13_44:                              ;   in Loop: Header=BB13_9 Depth=1
	v_mov_b32_e32 v3, v8
	s_andn2_b64 vcc, exec, s[52:53]
	s_cbranch_vccnz .LBB13_47
.LBB13_45:                              ;   in Loop: Header=BB13_9 Depth=1
	s_lshl_b32 s2, s4, 2
	s_add_u32 s2, s46, s2
	s_addc_u32 s3, s47, 0
	s_mul_i32 s4, s4, 12
	s_add_u32 s4, s34, s4
	s_addc_u32 s5, s35, 0
	s_mov_b32 s6, s68
.LBB13_46:                              ;   Parent Loop BB13_9 Depth=1
                                        ; =>  This Inner Loop Header: Depth=2
	s_load_dwordx2 s[16:17], s[4:5], 0x4
	s_load_dword s7, s[4:5], 0xc
	s_load_dword s18, s[2:3], 0x0
	s_add_u32 s4, s4, 12
	s_addc_u32 s5, s5, 0
	s_waitcnt lgkmcnt(0)
	v_mul_hi_u32 v5, s17, v3
	v_add_u32_e32 v5, v3, v5
	v_lshrrev_b32_e32 v5, s7, v5
	s_add_u32 s2, s2, 4
	v_mul_lo_u32 v9, v5, s16
	s_addc_u32 s3, s3, 0
	s_add_i32 s6, s6, -1
	v_sub_u32_e32 v9, v3, v9
	s_cmp_lg_u32 s6, 0
	v_mov_b32_e32 v3, v5
	v_mad_u64_u32 v[4:5], s[16:17], v9, s18, v[4:5]
	s_cbranch_scc1 .LBB13_46
.LBB13_47:                              ;   in Loop: Header=BB13_9 Depth=1
	s_cbranch_execnz .LBB13_50
.LBB13_48:                              ;   in Loop: Header=BB13_9 Depth=1
	v_mul_hi_u32 v3, v8, s10
	v_add_u32_e32 v3, v3, v8
	v_lshrrev_b32_e32 v3, s11, v3
	v_mul_lo_u32 v4, v3, s9
	v_sub_u32_e32 v4, v8, v4
	s_andn2_b64 vcc, exec, s[30:31]
	v_mul_lo_u32 v4, v4, s44
	s_cbranch_vccnz .LBB13_50
; %bb.49:                               ;   in Loop: Header=BB13_9 Depth=1
	v_mul_hi_u32 v5, s13, v3
	v_add_u32_e32 v5, v3, v5
	v_lshrrev_b32_e32 v5, s14, v5
	v_mul_lo_u32 v5, v5, s12
	v_sub_u32_e32 v3, v3, v5
	v_mad_u64_u32 v[4:5], s[2:3], v3, s45, v[4:5]
.LBB13_50:                              ;   in Loop: Header=BB13_9 Depth=1
	v_lshrrev_b32_e32 v3, 11, v7
	v_cvt_f64_u32_e32 v[8:9], v3
	v_ldexp_f64 v[8:9], v[8:9], 32
	v_cvt_f64_u32_e32 v[6:7], v6
	v_add_f64 v[6:7], v[8:9], v[6:7]
	v_mov_b32_e32 v8, 0
	v_mov_b32_e32 v9, 0x3ca00000
	v_fmac_f64_e32 v[8:9], 0x3ca00000, v[6:7]
	v_cvt_f32_f64_e32 v3, v[8:9]
	v_cmp_gt_f32_e32 vcc, s70, v3
	v_cndmask_b32_e32 v5, 1.0, v40, vcc
	v_mul_f32_e32 v3, v3, v5
	v_log_f32_e32 v3, v3
	v_mul_f32_e32 v5, 0x3f317217, v3
	v_fma_f32 v6, v3, s8, -v5
	v_fmac_f32_e32 v6, 0x3377d1cf, v3
	v_add_f32_e32 v5, v5, v6
	v_cmp_lt_f32_e64 s[2:3], |v3|, s15
	v_cndmask_b32_e64 v3, v3, v5, s[2:3]
	v_cndmask_b32_e32 v5, 0, v41, vcc
	v_sub_f32_e32 v3, v3, v5
	v_div_scale_f32 v5, s[2:3], v39, v39, v3
	v_rcp_f32_e32 v6, v5
	v_fma_f32 v7, -v5, v6, 1.0
	v_fmac_f32_e32 v6, v7, v6
	v_div_scale_f32 v7, vcc, v3, v39, v3
	v_mul_f32_e32 v8, v7, v6
	v_fma_f32 v9, -v5, v8, v7
	v_fmac_f32_e32 v8, v9, v6
	v_fma_f32 v5, -v5, v8, v7
	v_div_fmas_f32 v5, v5, v6, v8
	v_div_fixup_f32 v3, v5, v39, v3
	v_ceil_f32_e32 v3, v3
	v_mul_f32_e64 v5, |v3|, s63
	v_floor_f32_e32 v5, v5
	v_fma_f32 v6, v5, s64, |v3|
	v_cvt_u32_f32_e32 v6, v6
	v_cvt_u32_f32_e32 v5, v5
	v_ashrrev_i32_e32 v3, 31, v3
	v_xor_b32_e32 v6, v6, v3
	v_xor_b32_e32 v5, v5, v3
	v_sub_co_u32_e32 v6, vcc, v6, v3
	v_subb_co_u32_e32 v7, vcc, v5, v3, vcc
	global_store_dwordx2 v4, v[6:7], s[28:29]
.LBB13_51:                              ;   in Loop: Header=BB13_9 Depth=1
	s_or_b64 exec, exec, s[54:55]
	v_mov_b32_e32 v3, s65
	v_add_co_u32_e32 v4, vcc, s62, v12
	v_addc_co_u32_e32 v5, vcc, v13, v3, vcc
	v_cmp_gt_i64_e32 vcc, s[24:25], v[4:5]
	s_and_saveexec_b64 s[2:3], vcc
	s_cbranch_execz .LBB13_67
; %bb.52:                               ;   in Loop: Header=BB13_9 Depth=1
	s_and_b64 vcc, exec, s[0:1]
	s_cbranch_vccnz .LBB13_58
; %bb.53:                               ;   in Loop: Header=BB13_9 Depth=1
	s_andn2_b64 vcc, exec, s[42:43]
	s_cbranch_vccnz .LBB13_59
; %bb.54:                               ;   in Loop: Header=BB13_9 Depth=1
	s_mov_b32 s6, 0
	s_andn2_b64 vcc, exec, s[48:49]
	v_mov_b32_e32 v6, 0
	s_cbranch_vccnz .LBB13_60
; %bb.55:                               ;   in Loop: Header=BB13_9 Depth=1
	s_mov_b32 s71, 0
	v_mov_b32_e32 v6, 0
	s_mov_b64 s[54:55], s[34:35]
	s_mov_b64 s[56:57], s[46:47]
	v_mov_b32_e32 v3, v4
.LBB13_56:                              ;   Parent Loop BB13_9 Depth=1
                                        ; =>  This Inner Loop Header: Depth=2
	s_load_dwordx8 s[16:23], s[54:55], 0x4
	s_load_dwordx4 s[4:7], s[54:55], 0x24
	s_load_dwordx4 s[36:39], s[56:57], 0x0
	s_add_u32 s54, s54, 48
	s_addc_u32 s55, s55, 0
	s_waitcnt lgkmcnt(0)
	v_mul_hi_u32 v5, s17, v3
	v_add_u32_e32 v5, v3, v5
	v_lshrrev_b32_e32 v5, s18, v5
	v_mul_lo_u32 v7, v5, s16
	v_mul_hi_u32 v8, s20, v5
	v_sub_u32_e32 v3, v3, v7
	v_add_u32_e32 v7, v5, v8
	v_lshrrev_b32_e32 v7, s21, v7
	v_mul_lo_u32 v8, v7, s19
	v_mul_hi_u32 v9, s23, v7
	v_sub_u32_e32 v5, v5, v8
	v_add_u32_e32 v8, v7, v9
	v_mul_lo_u32 v3, v3, s36
	v_mul_lo_u32 v5, v5, s37
	v_lshrrev_b32_e32 v8, s4, v8
	v_add3_u32 v5, v3, v6, v5
	v_mul_lo_u32 v3, v8, s22
	v_mul_hi_u32 v6, s6, v8
	v_sub_u32_e32 v3, v7, v3
	v_add_u32_e32 v6, v8, v6
	v_mul_lo_u32 v7, v3, s38
	v_lshrrev_b32_e32 v3, s7, v6
	s_add_i32 s71, s71, 4
	v_mul_lo_u32 v6, v3, s5
	s_add_u32 s56, s56, 16
	v_sub_u32_e32 v6, v8, v6
	s_addc_u32 s57, s57, 0
	v_mul_lo_u32 v6, v6, s39
	s_cmp_eq_u32 s69, s71
	v_add3_u32 v6, v7, v5, v6
	s_cbranch_scc0 .LBB13_56
; %bb.57:                               ;   in Loop: Header=BB13_9 Depth=1
	s_mov_b32 s6, s69
	s_andn2_b64 vcc, exec, s[52:53]
	s_cbranch_vccz .LBB13_61
	s_branch .LBB13_63
.LBB13_58:                              ;   in Loop: Header=BB13_9 Depth=1
                                        ; implicit-def: $vgpr6
	s_branch .LBB13_64
.LBB13_59:                              ;   in Loop: Header=BB13_9 Depth=1
	v_mov_b32_e32 v6, 0
	s_branch .LBB13_63
.LBB13_60:                              ;   in Loop: Header=BB13_9 Depth=1
	v_mov_b32_e32 v3, v4
	s_andn2_b64 vcc, exec, s[52:53]
	s_cbranch_vccnz .LBB13_63
.LBB13_61:                              ;   in Loop: Header=BB13_9 Depth=1
	s_lshl_b32 s4, s6, 2
	s_add_u32 s4, s46, s4
	s_addc_u32 s5, s47, 0
	s_mul_i32 s6, s6, 12
	s_add_u32 s6, s34, s6
	s_addc_u32 s7, s35, 0
	s_mov_b32 s16, s68
.LBB13_62:                              ;   Parent Loop BB13_9 Depth=1
                                        ; =>  This Inner Loop Header: Depth=2
	s_load_dwordx2 s[18:19], s[6:7], 0x4
	s_load_dword s17, s[6:7], 0xc
	s_load_dword s20, s[4:5], 0x0
	s_add_u32 s6, s6, 12
	s_addc_u32 s7, s7, 0
	s_waitcnt lgkmcnt(0)
	v_mul_hi_u32 v5, s19, v3
	v_add_u32_e32 v5, v3, v5
	v_lshrrev_b32_e32 v5, s17, v5
	s_add_u32 s4, s4, 4
	v_mul_lo_u32 v7, v5, s18
	s_addc_u32 s5, s5, 0
	s_add_i32 s16, s16, -1
	v_sub_u32_e32 v7, v3, v7
	s_cmp_lg_u32 s16, 0
	v_mov_b32_e32 v3, v5
	v_mad_u64_u32 v[6:7], s[18:19], v7, s20, v[6:7]
	s_cbranch_scc1 .LBB13_62
.LBB13_63:                              ;   in Loop: Header=BB13_9 Depth=1
	s_cbranch_execnz .LBB13_66
.LBB13_64:                              ;   in Loop: Header=BB13_9 Depth=1
	v_mul_hi_u32 v3, v4, s10
	v_add_u32_e32 v3, v3, v4
	v_lshrrev_b32_e32 v3, s11, v3
	v_mul_lo_u32 v5, v3, s9
	v_sub_u32_e32 v4, v4, v5
	s_andn2_b64 vcc, exec, s[30:31]
	v_mul_lo_u32 v6, v4, s44
	s_cbranch_vccnz .LBB13_66
; %bb.65:                               ;   in Loop: Header=BB13_9 Depth=1
	v_mul_hi_u32 v4, s13, v3
	v_add_u32_e32 v4, v3, v4
	v_lshrrev_b32_e32 v4, s14, v4
	v_mul_lo_u32 v4, v4, s12
	v_sub_u32_e32 v3, v3, v4
	v_mad_u64_u32 v[6:7], s[4:5], v3, s45, v[6:7]
.LBB13_66:                              ;   in Loop: Header=BB13_9 Depth=1
	global_store_dwordx2 v6, v[14:15], s[28:29]
.LBB13_67:                              ;   in Loop: Header=BB13_9 Depth=1
	s_or_b64 exec, exec, s[2:3]
	v_mov_b32_e32 v3, s67
	v_add_co_u32_e32 v4, vcc, s66, v12
	v_addc_co_u32_e32 v5, vcc, v13, v3, vcc
	v_cmp_gt_i64_e32 vcc, s[24:25], v[4:5]
	s_and_saveexec_b64 s[36:37], vcc
	s_cbranch_execz .LBB13_8
; %bb.68:                               ;   in Loop: Header=BB13_9 Depth=1
	s_and_b64 vcc, exec, s[0:1]
	s_cbranch_vccnz .LBB13_74
; %bb.69:                               ;   in Loop: Header=BB13_9 Depth=1
	s_andn2_b64 vcc, exec, s[42:43]
	s_cbranch_vccnz .LBB13_75
; %bb.70:                               ;   in Loop: Header=BB13_9 Depth=1
	s_mov_b32 s2, 0
	s_andn2_b64 vcc, exec, s[48:49]
	v_mov_b32_e32 v6, 0
	s_cbranch_vccnz .LBB13_76
; %bb.71:                               ;   in Loop: Header=BB13_9 Depth=1
	s_mov_b32 s56, 0
	v_mov_b32_e32 v6, 0
	s_mov_b64 s[38:39], s[34:35]
	s_mov_b64 s[54:55], s[46:47]
	v_mov_b32_e32 v3, v4
.LBB13_72:                              ;   Parent Loop BB13_9 Depth=1
                                        ; =>  This Inner Loop Header: Depth=2
	s_load_dwordx8 s[0:7], s[38:39], 0x4
	s_load_dwordx4 s[16:19], s[38:39], 0x24
	s_load_dwordx4 s[20:23], s[54:55], 0x0
	s_add_u32 s38, s38, 48
	s_addc_u32 s39, s39, 0
	s_waitcnt lgkmcnt(0)
	v_mul_hi_u32 v5, s1, v3
	v_add_u32_e32 v5, v3, v5
	v_lshrrev_b32_e32 v5, s2, v5
	v_mul_lo_u32 v7, v5, s0
	v_mul_hi_u32 v8, s4, v5
	v_sub_u32_e32 v3, v3, v7
	v_add_u32_e32 v7, v5, v8
	v_lshrrev_b32_e32 v7, s5, v7
	v_mul_lo_u32 v8, v7, s3
	v_mul_hi_u32 v9, s7, v7
	v_sub_u32_e32 v5, v5, v8
	v_add_u32_e32 v8, v7, v9
	v_mul_lo_u32 v3, v3, s20
	v_mul_lo_u32 v5, v5, s21
	v_lshrrev_b32_e32 v8, s16, v8
	v_add3_u32 v5, v3, v6, v5
	v_mul_lo_u32 v3, v8, s6
	v_mul_hi_u32 v6, s18, v8
	v_sub_u32_e32 v3, v7, v3
	v_add_u32_e32 v6, v8, v6
	v_mul_lo_u32 v7, v3, s22
	v_lshrrev_b32_e32 v3, s19, v6
	s_add_i32 s56, s56, 4
	v_mul_lo_u32 v6, v3, s17
	s_add_u32 s54, s54, 16
	v_sub_u32_e32 v6, v8, v6
	s_addc_u32 s55, s55, 0
	v_mul_lo_u32 v6, v6, s23
	s_cmp_eq_u32 s69, s56
	v_add3_u32 v6, v7, v5, v6
	s_cbranch_scc0 .LBB13_72
; %bb.73:                               ;   in Loop: Header=BB13_9 Depth=1
	s_mov_b32 s2, s69
	s_andn2_b64 vcc, exec, s[52:53]
	s_cbranch_vccz .LBB13_77
	s_branch .LBB13_79
.LBB13_74:                              ;   in Loop: Header=BB13_9 Depth=1
                                        ; implicit-def: $vgpr6
	s_branch .LBB13_80
.LBB13_75:                              ;   in Loop: Header=BB13_9 Depth=1
	v_mov_b32_e32 v6, 0
	s_branch .LBB13_79
.LBB13_76:                              ;   in Loop: Header=BB13_9 Depth=1
	v_mov_b32_e32 v3, v4
	s_andn2_b64 vcc, exec, s[52:53]
	s_cbranch_vccnz .LBB13_79
.LBB13_77:                              ;   in Loop: Header=BB13_9 Depth=1
	s_lshl_b32 s0, s2, 2
	s_add_u32 s0, s46, s0
	s_addc_u32 s1, s47, 0
	s_mul_i32 s2, s2, 12
	s_add_u32 s2, s34, s2
	s_addc_u32 s3, s35, 0
	s_mov_b32 s4, s68
.LBB13_78:                              ;   Parent Loop BB13_9 Depth=1
                                        ; =>  This Inner Loop Header: Depth=2
	s_load_dwordx2 s[6:7], s[2:3], 0x4
	s_load_dword s5, s[2:3], 0xc
	s_load_dword s16, s[0:1], 0x0
	s_add_u32 s2, s2, 12
	s_addc_u32 s3, s3, 0
	s_waitcnt lgkmcnt(0)
	v_mul_hi_u32 v5, s7, v3
	v_add_u32_e32 v5, v3, v5
	v_lshrrev_b32_e32 v5, s5, v5
	s_add_u32 s0, s0, 4
	v_mul_lo_u32 v7, v5, s6
	s_addc_u32 s1, s1, 0
	s_add_i32 s4, s4, -1
	v_sub_u32_e32 v7, v3, v7
	s_cmp_lg_u32 s4, 0
	v_mov_b32_e32 v3, v5
	v_mad_u64_u32 v[6:7], s[6:7], v7, s16, v[6:7]
	s_cbranch_scc1 .LBB13_78
.LBB13_79:                              ;   in Loop: Header=BB13_9 Depth=1
	s_cbranch_execnz .LBB13_7
.LBB13_80:                              ;   in Loop: Header=BB13_9 Depth=1
	v_mul_hi_u32 v3, v4, s10
	v_add_u32_e32 v3, v3, v4
	v_lshrrev_b32_e32 v3, s11, v3
	v_mul_lo_u32 v5, v3, s9
	v_sub_u32_e32 v4, v4, v5
	s_andn2_b64 vcc, exec, s[30:31]
	v_mul_lo_u32 v6, v4, s44
	s_cbranch_vccnz .LBB13_7
; %bb.81:                               ;   in Loop: Header=BB13_9 Depth=1
	v_mul_hi_u32 v4, s13, v3
	v_add_u32_e32 v4, v3, v4
	v_lshrrev_b32_e32 v4, s14, v4
	v_mul_lo_u32 v4, v4, s12
	v_sub_u32_e32 v3, v3, v4
	v_mad_u64_u32 v[6:7], s[0:1], v3, s45, v[6:7]
	s_branch .LBB13_7
.LBB13_82:
	s_endpgm
.LBB13_83:
                                        ; implicit-def: $sgpr2_sgpr3
	s_andn2_b64 vcc, exec, s[0:1]
	s_cbranch_vccz .LBB13_4
	s_branch .LBB13_5
	.section	.rodata,"a",@progbits
	.p2align	6, 0x0
	.amdhsa_kernel _ZN2at6native12_GLOBAL__N_143distribution_elementwise_grid_stride_kernelIfLi4EZNS0_9templates4cuda21uniform_and_transformIlfPNS_17CUDAGeneratorImplEZZZNS4_16geometric_kernelIS7_EEvRNS_18TensorIteratorBaseEdT_ENKUlvE_clEvENKUlvE2_clEvEUlfE_EEvSA_T1_T2_EUlP25hiprandStatePhilox4_32_10E_ZNS1_27distribution_nullary_kernelIlf15HIP_vector_typeIdLj2EES7_SJ_SE_EEvSA_SG_RKT3_T4_EUlifE0_EEvlNS_15PhiloxCudaStateESF_SG_
		.amdhsa_group_segment_fixed_size 0
		.amdhsa_private_segment_fixed_size 0
		.amdhsa_kernarg_size 584
		.amdhsa_user_sgpr_count 6
		.amdhsa_user_sgpr_private_segment_buffer 1
		.amdhsa_user_sgpr_dispatch_ptr 0
		.amdhsa_user_sgpr_queue_ptr 0
		.amdhsa_user_sgpr_kernarg_segment_ptr 1
		.amdhsa_user_sgpr_dispatch_id 0
		.amdhsa_user_sgpr_flat_scratch_init 0
		.amdhsa_user_sgpr_kernarg_preload_length 0
		.amdhsa_user_sgpr_kernarg_preload_offset 0
		.amdhsa_user_sgpr_private_segment_size 0
		.amdhsa_uses_dynamic_stack 0
		.amdhsa_system_sgpr_private_segment_wavefront_offset 0
		.amdhsa_system_sgpr_workgroup_id_x 1
		.amdhsa_system_sgpr_workgroup_id_y 0
		.amdhsa_system_sgpr_workgroup_id_z 0
		.amdhsa_system_sgpr_workgroup_info 0
		.amdhsa_system_vgpr_workitem_id 0
		.amdhsa_next_free_vgpr 46
		.amdhsa_next_free_sgpr 72
		.amdhsa_accum_offset 48
		.amdhsa_reserve_vcc 1
		.amdhsa_reserve_flat_scratch 0
		.amdhsa_float_round_mode_32 0
		.amdhsa_float_round_mode_16_64 0
		.amdhsa_float_denorm_mode_32 3
		.amdhsa_float_denorm_mode_16_64 3
		.amdhsa_dx10_clamp 1
		.amdhsa_ieee_mode 1
		.amdhsa_fp16_overflow 0
		.amdhsa_tg_split 0
		.amdhsa_exception_fp_ieee_invalid_op 0
		.amdhsa_exception_fp_denorm_src 0
		.amdhsa_exception_fp_ieee_div_zero 0
		.amdhsa_exception_fp_ieee_overflow 0
		.amdhsa_exception_fp_ieee_underflow 0
		.amdhsa_exception_fp_ieee_inexact 0
		.amdhsa_exception_int_div_zero 0
	.end_amdhsa_kernel
	.section	.text._ZN2at6native12_GLOBAL__N_143distribution_elementwise_grid_stride_kernelIfLi4EZNS0_9templates4cuda21uniform_and_transformIlfPNS_17CUDAGeneratorImplEZZZNS4_16geometric_kernelIS7_EEvRNS_18TensorIteratorBaseEdT_ENKUlvE_clEvENKUlvE2_clEvEUlfE_EEvSA_T1_T2_EUlP25hiprandStatePhilox4_32_10E_ZNS1_27distribution_nullary_kernelIlf15HIP_vector_typeIdLj2EES7_SJ_SE_EEvSA_SG_RKT3_T4_EUlifE0_EEvlNS_15PhiloxCudaStateESF_SG_,"axG",@progbits,_ZN2at6native12_GLOBAL__N_143distribution_elementwise_grid_stride_kernelIfLi4EZNS0_9templates4cuda21uniform_and_transformIlfPNS_17CUDAGeneratorImplEZZZNS4_16geometric_kernelIS7_EEvRNS_18TensorIteratorBaseEdT_ENKUlvE_clEvENKUlvE2_clEvEUlfE_EEvSA_T1_T2_EUlP25hiprandStatePhilox4_32_10E_ZNS1_27distribution_nullary_kernelIlf15HIP_vector_typeIdLj2EES7_SJ_SE_EEvSA_SG_RKT3_T4_EUlifE0_EEvlNS_15PhiloxCudaStateESF_SG_,comdat
.Lfunc_end13:
	.size	_ZN2at6native12_GLOBAL__N_143distribution_elementwise_grid_stride_kernelIfLi4EZNS0_9templates4cuda21uniform_and_transformIlfPNS_17CUDAGeneratorImplEZZZNS4_16geometric_kernelIS7_EEvRNS_18TensorIteratorBaseEdT_ENKUlvE_clEvENKUlvE2_clEvEUlfE_EEvSA_T1_T2_EUlP25hiprandStatePhilox4_32_10E_ZNS1_27distribution_nullary_kernelIlf15HIP_vector_typeIdLj2EES7_SJ_SE_EEvSA_SG_RKT3_T4_EUlifE0_EEvlNS_15PhiloxCudaStateESF_SG_, .Lfunc_end13-_ZN2at6native12_GLOBAL__N_143distribution_elementwise_grid_stride_kernelIfLi4EZNS0_9templates4cuda21uniform_and_transformIlfPNS_17CUDAGeneratorImplEZZZNS4_16geometric_kernelIS7_EEvRNS_18TensorIteratorBaseEdT_ENKUlvE_clEvENKUlvE2_clEvEUlfE_EEvSA_T1_T2_EUlP25hiprandStatePhilox4_32_10E_ZNS1_27distribution_nullary_kernelIlf15HIP_vector_typeIdLj2EES7_SJ_SE_EEvSA_SG_RKT3_T4_EUlifE0_EEvlNS_15PhiloxCudaStateESF_SG_
                                        ; -- End function
	.section	.AMDGPU.csdata,"",@progbits
; Kernel info:
; codeLenInByte = 5580
; NumSgprs: 76
; NumVgprs: 46
; NumAgprs: 0
; TotalNumVgprs: 46
; ScratchSize: 0
; MemoryBound: 0
; FloatMode: 240
; IeeeMode: 1
; LDSByteSize: 0 bytes/workgroup (compile time only)
; SGPRBlocks: 9
; VGPRBlocks: 5
; NumSGPRsForWavesPerEU: 76
; NumVGPRsForWavesPerEU: 46
; AccumOffset: 48
; Occupancy: 8
; WaveLimiterHint : 1
; COMPUTE_PGM_RSRC2:SCRATCH_EN: 0
; COMPUTE_PGM_RSRC2:USER_SGPR: 6
; COMPUTE_PGM_RSRC2:TRAP_HANDLER: 0
; COMPUTE_PGM_RSRC2:TGID_X_EN: 1
; COMPUTE_PGM_RSRC2:TGID_Y_EN: 0
; COMPUTE_PGM_RSRC2:TGID_Z_EN: 0
; COMPUTE_PGM_RSRC2:TIDIG_COMP_CNT: 0
; COMPUTE_PGM_RSRC3_GFX90A:ACCUM_OFFSET: 11
; COMPUTE_PGM_RSRC3_GFX90A:TG_SPLIT: 0
	.section	.text._ZN2at6native12_GLOBAL__N_143distribution_elementwise_grid_stride_kernelIfLi4EZNS0_9templates4cuda21uniform_and_transformIlfPNS_17CUDAGeneratorImplEZZZNS4_16geometric_kernelIS7_EEvRNS_18TensorIteratorBaseEdT_ENKUlvE_clEvENKUlvE2_clEvEUlfE_EEvSA_T1_T2_EUlP25hiprandStatePhilox4_32_10E0_ZNS1_27distribution_nullary_kernelIlf15HIP_vector_typeIfLj4EES7_SJ_SE_EEvSA_SG_RKT3_T4_EUlifE_EEvlNS_15PhiloxCudaStateESF_SG_,"axG",@progbits,_ZN2at6native12_GLOBAL__N_143distribution_elementwise_grid_stride_kernelIfLi4EZNS0_9templates4cuda21uniform_and_transformIlfPNS_17CUDAGeneratorImplEZZZNS4_16geometric_kernelIS7_EEvRNS_18TensorIteratorBaseEdT_ENKUlvE_clEvENKUlvE2_clEvEUlfE_EEvSA_T1_T2_EUlP25hiprandStatePhilox4_32_10E0_ZNS1_27distribution_nullary_kernelIlf15HIP_vector_typeIfLj4EES7_SJ_SE_EEvSA_SG_RKT3_T4_EUlifE_EEvlNS_15PhiloxCudaStateESF_SG_,comdat
	.globl	_ZN2at6native12_GLOBAL__N_143distribution_elementwise_grid_stride_kernelIfLi4EZNS0_9templates4cuda21uniform_and_transformIlfPNS_17CUDAGeneratorImplEZZZNS4_16geometric_kernelIS7_EEvRNS_18TensorIteratorBaseEdT_ENKUlvE_clEvENKUlvE2_clEvEUlfE_EEvSA_T1_T2_EUlP25hiprandStatePhilox4_32_10E0_ZNS1_27distribution_nullary_kernelIlf15HIP_vector_typeIfLj4EES7_SJ_SE_EEvSA_SG_RKT3_T4_EUlifE_EEvlNS_15PhiloxCudaStateESF_SG_ ; -- Begin function _ZN2at6native12_GLOBAL__N_143distribution_elementwise_grid_stride_kernelIfLi4EZNS0_9templates4cuda21uniform_and_transformIlfPNS_17CUDAGeneratorImplEZZZNS4_16geometric_kernelIS7_EEvRNS_18TensorIteratorBaseEdT_ENKUlvE_clEvENKUlvE2_clEvEUlfE_EEvSA_T1_T2_EUlP25hiprandStatePhilox4_32_10E0_ZNS1_27distribution_nullary_kernelIlf15HIP_vector_typeIfLj4EES7_SJ_SE_EEvSA_SG_RKT3_T4_EUlifE_EEvlNS_15PhiloxCudaStateESF_SG_
	.p2align	8
	.type	_ZN2at6native12_GLOBAL__N_143distribution_elementwise_grid_stride_kernelIfLi4EZNS0_9templates4cuda21uniform_and_transformIlfPNS_17CUDAGeneratorImplEZZZNS4_16geometric_kernelIS7_EEvRNS_18TensorIteratorBaseEdT_ENKUlvE_clEvENKUlvE2_clEvEUlfE_EEvSA_T1_T2_EUlP25hiprandStatePhilox4_32_10E0_ZNS1_27distribution_nullary_kernelIlf15HIP_vector_typeIfLj4EES7_SJ_SE_EEvSA_SG_RKT3_T4_EUlifE_EEvlNS_15PhiloxCudaStateESF_SG_,@function
_ZN2at6native12_GLOBAL__N_143distribution_elementwise_grid_stride_kernelIfLi4EZNS0_9templates4cuda21uniform_and_transformIlfPNS_17CUDAGeneratorImplEZZZNS4_16geometric_kernelIS7_EEvRNS_18TensorIteratorBaseEdT_ENKUlvE_clEvENKUlvE2_clEvEUlfE_EEvSA_T1_T2_EUlP25hiprandStatePhilox4_32_10E0_ZNS1_27distribution_nullary_kernelIlf15HIP_vector_typeIfLj4EES7_SJ_SE_EEvSA_SG_RKT3_T4_EUlifE_EEvlNS_15PhiloxCudaStateESF_SG_: ; @_ZN2at6native12_GLOBAL__N_143distribution_elementwise_grid_stride_kernelIfLi4EZNS0_9templates4cuda21uniform_and_transformIlfPNS_17CUDAGeneratorImplEZZZNS4_16geometric_kernelIS7_EEvRNS_18TensorIteratorBaseEdT_ENKUlvE_clEvENKUlvE2_clEvEUlfE_EEvSA_T1_T2_EUlP25hiprandStatePhilox4_32_10E0_ZNS1_27distribution_nullary_kernelIlf15HIP_vector_typeIfLj4EES7_SJ_SE_EEvSA_SG_RKT3_T4_EUlifE_EEvlNS_15PhiloxCudaStateESF_SG_
; %bb.0:
	s_load_dword s7, s[4:5], 0x20
	s_load_dwordx2 s[10:11], s[4:5], 0x10
	s_load_dwordx4 s[0:3], s[4:5], 0x0
	s_mov_b32 s8, 0
	s_waitcnt lgkmcnt(0)
	s_bitcmp0_b32 s7, 0
	v_pk_mov_b32 v[2:3], s[10:11], s[10:11] op_sel:[0,1]
	v_pk_mov_b32 v[14:15], s[2:3], s[2:3] op_sel:[0,1]
	s_cbranch_scc1 .LBB14_2
; %bb.1:
	v_pk_mov_b32 v[2:3], s[10:11], s[10:11] op_sel:[0,1]
	flat_load_dwordx2 v[2:3], v[2:3]
	v_pk_mov_b32 v[4:5], s[2:3], s[2:3] op_sel:[0,1]
	flat_load_dwordx2 v[14:15], v[4:5]
	s_load_dwordx2 s[2:3], s[4:5], 0x18
	s_waitcnt lgkmcnt(0)
	v_mov_b32_e32 v1, s3
	s_waitcnt vmcnt(0)
	v_add_co_u32_e32 v2, vcc, s2, v2
	v_addc_co_u32_e32 v3, vcc, v3, v1, vcc
.LBB14_2:
	s_load_dword s2, s[4:5], 0x54
	s_load_dword s22, s[4:5], 0x48
	s_waitcnt lgkmcnt(0)
	s_and_b32 s7, s2, 0xffff
	s_add_u32 s10, s0, -1
	s_mul_i32 s12, s22, s7
	s_addc_u32 s9, s1, -1
	s_lshl_b32 s13, s12, 2
	s_cmp_lg_u64 s[8:9], 0
	s_mov_b64 s[2:3], -1
	s_cbranch_scc0 .LBB14_27
; %bb.3:
	v_cvt_f32_u32_e32 v1, s13
	v_cvt_f32_ubyte0_e32 v4, 0
	s_sub_u32 s8, 0, s13
	s_subb_u32 s11, 0, 0
	v_madmk_f32 v1, v4, 0x4f800000, v1
	v_rcp_f32_e32 v1, v1
	v_mul_f32_e32 v1, 0x5f7ffffc, v1
	v_mul_f32_e32 v4, 0x2f800000, v1
	v_trunc_f32_e32 v4, v4
	v_madmk_f32 v1, v4, 0xcf800000, v1
	v_cvt_u32_f32_e32 v4, v4
	v_cvt_u32_f32_e32 v1, v1
	v_readfirstlane_b32 s14, v4
	v_readfirstlane_b32 s15, v1
	s_mul_i32 s16, s8, s14
	s_mul_hi_u32 s18, s8, s15
	s_mul_i32 s17, s11, s15
	s_add_i32 s16, s18, s16
	s_add_i32 s16, s16, s17
	s_mul_i32 s19, s8, s15
	s_mul_hi_u32 s17, s15, s16
	s_mul_i32 s18, s15, s16
	s_mul_hi_u32 s15, s15, s19
	s_add_u32 s15, s15, s18
	s_addc_u32 s17, 0, s17
	s_mul_hi_u32 s20, s14, s19
	s_mul_i32 s19, s14, s19
	s_add_u32 s15, s15, s19
	s_mul_hi_u32 s18, s14, s16
	s_addc_u32 s15, s17, s20
	s_addc_u32 s17, s18, 0
	s_mul_i32 s16, s14, s16
	s_add_u32 s15, s15, s16
	s_addc_u32 s16, 0, s17
	v_add_co_u32_e32 v1, vcc, s15, v1
	s_cmp_lg_u64 vcc, 0
	s_addc_u32 s14, s14, s16
	v_readfirstlane_b32 s16, v1
	s_mul_i32 s15, s8, s14
	s_mul_hi_u32 s17, s8, s16
	s_add_i32 s15, s17, s15
	s_mul_i32 s11, s11, s16
	s_add_i32 s15, s15, s11
	s_mul_i32 s8, s8, s16
	s_mul_hi_u32 s17, s14, s8
	s_mul_i32 s18, s14, s8
	s_mul_i32 s20, s16, s15
	s_mul_hi_u32 s8, s16, s8
	s_mul_hi_u32 s19, s16, s15
	s_add_u32 s8, s8, s20
	s_addc_u32 s16, 0, s19
	s_add_u32 s8, s8, s18
	s_mul_hi_u32 s11, s14, s15
	s_addc_u32 s8, s16, s17
	s_addc_u32 s11, s11, 0
	s_mul_i32 s15, s14, s15
	s_add_u32 s8, s8, s15
	s_addc_u32 s11, 0, s11
	v_add_co_u32_e32 v1, vcc, s8, v1
	s_cmp_lg_u64 vcc, 0
	s_addc_u32 s11, s14, s11
	s_ashr_i32 s14, s9, 31
	s_add_u32 s8, s10, s14
	s_mov_b32 s15, s14
	s_addc_u32 s9, s9, s14
	s_xor_b64 s[8:9], s[8:9], s[14:15]
	v_readfirstlane_b32 s18, v1
	s_mul_i32 s17, s8, s11
	s_mul_hi_u32 s19, s8, s18
	s_mul_hi_u32 s16, s8, s11
	s_add_u32 s17, s19, s17
	s_addc_u32 s16, 0, s16
	s_mul_hi_u32 s20, s9, s18
	s_mul_i32 s18, s9, s18
	s_add_u32 s17, s17, s18
	s_mul_hi_u32 s19, s9, s11
	s_addc_u32 s16, s16, s20
	s_addc_u32 s17, s19, 0
	s_mul_i32 s11, s9, s11
	s_add_u32 s11, s16, s11
	s_addc_u32 s16, 0, s17
	s_add_u32 s17, s11, 1
	s_addc_u32 s18, s16, 0
	s_add_u32 s19, s11, 2
	s_mul_i32 s21, s13, s16
	s_mul_hi_u32 s23, s13, s11
	s_addc_u32 s20, s16, 0
	s_add_i32 s23, s23, s21
	s_mul_i32 s21, s13, s11
	v_mov_b32_e32 v1, s21
	v_sub_co_u32_e32 v1, vcc, s8, v1
	s_cmp_lg_u64 vcc, 0
	s_subb_u32 s8, s9, s23
	v_subrev_co_u32_e32 v4, vcc, s13, v1
	s_cmp_lg_u64 vcc, 0
	s_subb_u32 s9, s8, 0
	v_readfirstlane_b32 s21, v4
	s_cmp_ge_u32 s21, s13
	s_cselect_b32 s21, -1, 0
	s_cmp_eq_u32 s9, 0
	s_cselect_b32 s9, s21, -1
	s_cmp_lg_u32 s9, 0
	s_cselect_b32 s9, s20, s18
	v_readfirstlane_b32 s18, v1
	s_cselect_b32 s17, s19, s17
	s_cmp_ge_u32 s18, s13
	s_cselect_b32 s18, -1, 0
	s_cmp_eq_u32 s8, 0
	s_cselect_b32 s8, s18, -1
	s_cmp_lg_u32 s8, 0
	s_cselect_b32 s9, s9, s16
	s_cselect_b32 s8, s17, s11
	s_xor_b64 s[8:9], s[8:9], s[14:15]
	s_sub_u32 s8, s8, s14
	s_subb_u32 s9, s9, s14
	s_cbranch_execnz .LBB14_5
.LBB14_4:
	v_cvt_f32_u32_e32 v1, s13
	s_sub_i32 s2, 0, s13
	s_mov_b32 s9, 0
	v_rcp_iflag_f32_e32 v1, v1
	v_mul_f32_e32 v1, 0x4f7ffffe, v1
	v_cvt_u32_f32_e32 v1, v1
	v_readfirstlane_b32 s3, v1
	s_mul_i32 s2, s2, s3
	s_mul_hi_u32 s2, s3, s2
	s_add_i32 s3, s3, s2
	s_mul_hi_u32 s2, s10, s3
	s_mul_i32 s8, s2, s13
	s_sub_i32 s8, s10, s8
	s_add_i32 s3, s2, 1
	s_sub_i32 s10, s8, s13
	s_cmp_ge_u32 s8, s13
	s_cselect_b32 s2, s3, s2
	s_cselect_b32 s8, s10, s8
	s_add_i32 s3, s2, 1
	s_cmp_ge_u32 s8, s13
	s_cselect_b32 s8, s3, s2
.LBB14_5:
	v_mov_b32_e32 v1, 0
	v_mov_b32_e32 v4, s6
	v_mad_u64_u32 v[16:17], s[2:3], s7, v4, v[0:1]
	s_add_u32 s2, s8, 1
	s_addc_u32 s3, s9, 0
	s_mul_hi_u32 s8, s22, s7
	s_mul_i32 s3, s12, s3
	s_mul_hi_u32 s9, s12, s2
	s_add_i32 s3, s9, s3
	s_mul_i32 s8, s8, s2
	s_add_i32 s3, s3, s8
	s_mul_i32 s2, s12, s2
	s_lshl_b64 s[2:3], s[2:3], 2
	v_cmp_gt_i64_e32 vcc, s[2:3], v[16:17]
	s_and_saveexec_b64 s[8:9], vcc
	s_cbranch_execz .LBB14_26
; %bb.6:
	s_load_dwordx2 s[8:9], s[4:5], 0x30
	s_load_dword s23, s[4:5], 0x38
	s_load_dwordx2 s[10:11], s[4:5], 0x40
	s_mov_b32 s4, 0x5384540f
	v_mov_b32_e32 v4, v15
	v_add_co_u32_e32 v22, vcc, s4, v14
	s_mov_b32 s4, 0x646e171e
	v_add_co_u32_e32 v23, vcc, s4, v4
	s_mov_b32 s4, 0x1715609d
	;; [unrolled: 2-line block ×6, first 2 shown]
	v_alignbit_b32 v29, v3, v2, 2
	s_mov_b32 s15, 0xd2511f53
	v_add_co_u32_e32 v28, vcc, s4, v14
	v_mad_u64_u32 v[6:7], s[4:5], v29, s15, 0
	v_xor_b32_e32 v1, v7, v15
	v_xor_b32_e32 v1, v1, v17
	s_mov_b32 s16, 0xcd9e8d57
	v_mad_u64_u32 v[8:9], s[4:5], v1, s16, 0
	v_xor_b32_e32 v1, v28, v9
	v_mad_u64_u32 v[10:11], s[4:5], v16, s16, 0
	v_and_b32_e32 v18, 3, v2
	v_xor_b32_e32 v1, v1, v10
	v_xor_b32_e32 v2, v14, v11
	v_lshrrev_b32_e32 v30, 2, v3
	v_mad_u64_u32 v[12:13], s[4:5], v1, s15, 0
	v_xor_b32_e32 v2, v2, v30
	v_xor_b32_e32 v1, v27, v13
	v_mad_u64_u32 v[2:3], s[4:5], v2, s15, 0
	v_xor_b32_e32 v1, v1, v2
	v_mad_u64_u32 v[10:11], s[4:5], v1, s16, 0
	s_mov_b32 s4, 0xbb67ae85
	v_add_co_u32_e32 v31, vcc, s4, v4
	v_xor_b32_e32 v2, v31, v3
	v_xor_b32_e32 v2, v2, v6
	v_xor_b32_e32 v1, v26, v11
	v_mad_u64_u32 v[2:3], s[4:5], v2, s16, 0
	v_xor_b32_e32 v1, v1, v2
	v_mad_u64_u32 v[6:7], s[4:5], v1, s15, 0
	s_mov_b32 s4, 0x3c6ef372
	v_add_co_u32_e32 v32, vcc, s4, v14
	v_xor_b32_e32 v2, v32, v3
	;; [unrolled: 8-line block ×6, first 2 shown]
	v_add_co_u32_e32 v21, vcc, 0xdb3d7428, v4
	v_xor_b32_e32 v2, v2, v8
	v_xor_b32_e32 v1, v21, v7
	v_mad_u64_u32 v[2:3], s[4:5], v2, s15, 0
	v_xor_b32_e32 v1, v1, v2
	v_mad_u64_u32 v[8:9], s[4:5], v1, s16, 0
	s_mov_b32 s4, 0x1fd5c5a3
	v_add_co_u32_e32 v37, vcc, s4, v4
	v_xor_b32_e32 v1, v37, v3
	v_xor_b32_e32 v1, v1, v12
	v_mad_u64_u32 v[2:3], s[4:5], v1, s16, 0
	s_mov_b32 s4, 0xf1bbcdc8
	v_add_u32_e32 v19, 0x8ff34781, v14
	v_xor_b32_e32 v1, v9, v2
	v_add_co_u32_e32 v38, vcc, s4, v14
	v_xor_b32_e32 v2, v19, v1
	v_xor_b32_e32 v1, v38, v3
	;; [unrolled: 1-line block ×3, first 2 shown]
	v_mad_u64_u32 v[10:11], s[4:5], v1, s15, 0
	v_add_u32_e32 v20, 0x96a522ad, v15
	v_xor_b32_e32 v1, v11, v6
	v_xor_b32_e32 v4, v20, v1
	s_waitcnt lgkmcnt(0)
	v_cvt_f32_f64_e32 v1, s[10:11]
	v_mov_b32_e32 v3, v8
	v_sub_f32_e32 v8, 1.0, v1
	v_add_f32_e32 v6, -1.0, v8
	v_sub_f32_e32 v7, v6, v8
	v_add_f32_e32 v7, 1.0, v7
	v_sub_f32_e64 v6, -v1, v6
	v_mov_b32_e32 v5, v10
	v_add_f32_e32 v9, v6, v7
	v_frexp_mant_f32_e32 v10, v8
	s_mov_b32 s4, 0x3f2aaaab
	v_cvt_f64_f32_e32 v[6:7], v8
	v_frexp_exp_i32_f64_e32 v6, v[6:7]
	v_cmp_gt_f32_e32 vcc, s4, v10
	v_subbrev_co_u32_e32 v6, vcc, 0, v6, vcc
	v_sub_u32_e32 v7, 0, v6
	v_ldexp_f32 v8, v8, v7
	v_ldexp_f32 v7, v9, v7
	v_add_f32_e32 v9, -1.0, v8
	v_add_f32_e32 v12, 1.0, v8
	v_add_f32_e32 v10, 1.0, v9
	v_add_f32_e32 v13, -1.0, v12
	v_sub_f32_e32 v10, v8, v10
	v_sub_f32_e32 v8, v8, v13
	v_add_f32_e32 v10, v7, v10
	v_add_f32_e32 v7, v7, v8
	;; [unrolled: 1-line block ×3, first 2 shown]
	v_rcp_f32_e32 v13, v8
	v_add_f32_e32 v11, v9, v10
	v_sub_f32_e32 v9, v11, v9
	v_sub_f32_e32 v9, v10, v9
	;; [unrolled: 1-line block ×4, first 2 shown]
	v_mul_f32_e32 v10, v11, v13
	v_mul_f32_e32 v12, v8, v10
	v_fma_f32 v39, v10, v8, -v12
	v_fmac_f32_e32 v39, v10, v7
	v_add_f32_e32 v40, v12, v39
	v_sub_f32_e32 v41, v11, v40
	v_sub_f32_e32 v11, v11, v41
	v_sub_f32_e32 v12, v40, v12
	v_sub_f32_e32 v11, v11, v40
	v_add_f32_e32 v9, v9, v11
	v_sub_f32_e32 v11, v12, v39
	v_add_f32_e32 v9, v11, v9
	v_add_f32_e32 v11, v41, v9
	v_mul_f32_e32 v12, v13, v11
	v_mul_f32_e32 v39, v8, v12
	v_fma_f32 v8, v12, v8, -v39
	v_fmac_f32_e32 v8, v12, v7
	v_sub_f32_e32 v7, v41, v11
	v_add_f32_e32 v7, v9, v7
	v_add_f32_e32 v9, v39, v8
	v_sub_f32_e32 v40, v11, v9
	v_sub_f32_e32 v11, v11, v40
	;; [unrolled: 1-line block ×4, first 2 shown]
	v_add_f32_e32 v7, v7, v9
	v_sub_f32_e32 v8, v39, v8
	v_add_f32_e32 v7, v8, v7
	v_add_f32_e32 v8, v10, v12
	;; [unrolled: 1-line block ×3, first 2 shown]
	v_sub_f32_e32 v9, v8, v10
	v_mul_f32_e32 v7, v13, v7
	v_sub_f32_e32 v9, v12, v9
	v_add_f32_e32 v7, v9, v7
	v_cvt_f32_i32_e32 v6, v6
	v_add_f32_e32 v9, v8, v7
	v_mul_f32_e32 v10, v9, v9
	v_mov_b32_e32 v11, 0x3ecc95a3
	v_fmac_f32_e32 v11, 0x3e9b6dac, v10
	v_mov_b32_e32 v12, 0x3f2aaada
	v_fmac_f32_e32 v12, v10, v11
	s_mov_b32 s4, 0x3f317218
	v_mul_f32_e32 v11, 0x3f317218, v6
	v_fma_f32 v13, v6, s4, -v11
	v_fmac_f32_e32 v13, 0xb102e308, v6
	v_sub_f32_e32 v6, v9, v8
	v_sub_f32_e32 v6, v7, v6
	v_add_f32_e32 v7, v11, v13
	v_sub_f32_e32 v8, v7, v11
	v_ldexp_f32 v11, v9, 1
	v_mul_f32_e32 v9, v9, v10
	v_mul_f32_e32 v9, v9, v12
	v_add_f32_e32 v10, v11, v9
	v_sub_f32_e32 v11, v10, v11
	v_ldexp_f32 v6, v6, 1
	v_sub_f32_e32 v9, v9, v11
	v_add_f32_e32 v6, v6, v9
	v_add_f32_e32 v9, v10, v6
	v_sub_f32_e32 v10, v9, v10
	v_sub_f32_e32 v6, v6, v10
	v_add_f32_e32 v10, v7, v9
	v_sub_f32_e32 v11, v10, v7
	v_sub_f32_e32 v12, v10, v11
	;; [unrolled: 1-line block ×5, first 2 shown]
	v_add_f32_e32 v7, v9, v7
	v_add_f32_e32 v9, v8, v6
	v_sub_f32_e32 v11, v9, v8
	v_sub_f32_e32 v12, v9, v11
	;; [unrolled: 1-line block ×4, first 2 shown]
	v_add_f32_e32 v7, v9, v7
	v_add_f32_e32 v6, v6, v8
	;; [unrolled: 1-line block ×3, first 2 shown]
	v_sub_f32_e32 v9, v8, v10
	v_sub_f32_e32 v7, v7, v9
	v_add_f32_e32 v6, v6, v7
	s_mov_b32 s4, 0xff800000
	v_add_f32_e32 v6, v8, v6
	v_cmp_eq_f32_e32 vcc, s4, v1
	v_cndmask_b32_e64 v6, v6, -v1, vcc
	v_mov_b32_e32 v7, 0x7fc00000
	v_cmp_nlt_f32_e32 vcc, 1.0, v1
	v_cndmask_b32_e32 v6, v7, v6, vcc
	v_mov_b32_e32 v7, 0xff800000
	v_cmp_neq_f32_e32 vcc, 1.0, v1
	s_mov_b32 s4, 0x33800000
	v_cndmask_b32_e32 v6, v7, v6, vcc
	v_cmp_lt_f32_e64 s[4:5], |v1|, s4
	v_cndmask_b32_e64 v39, v6, -v1, s[4:5]
	s_mul_i32 s4, s6, s7
	v_add_u32_e32 v1, s4, v0
	s_mul_i32 s4, s22, s23
	s_mul_i32 s4, s4, s7
	s_lshl_b32 s21, s4, 2
	s_mul_i32 s4, s22, 3
	s_add_i32 s4, s6, s4
	s_mul_i32 s4, s4, s7
	v_mul_lo_u32 v40, s23, v1
	v_add_u32_e32 v1, s4, v0
	s_lshl_b32 s4, s22, 1
	s_add_i32 s4, s6, s4
	s_mul_i32 s4, s4, s7
	v_mul_lo_u32 v41, s23, v1
	v_add_u32_e32 v1, s4, v0
	s_add_i32 s4, s6, s22
	s_mul_i32 s4, s4, s7
	s_mov_b32 s14, 0
	v_add_u32_e32 v0, s4, v0
	s_lshl_b32 s17, s12, 1
	s_mov_b32 s18, s14
	s_mul_i32 s19, s12, 3
	s_mov_b32 s20, s14
	v_mul_lo_u32 v42, s23, v1
	v_mul_lo_u32 v43, s23, v0
	s_mov_b64 s[4:5], 0
	v_mov_b32_e32 v44, 0x2f800000
	s_mov_b32 s22, 0x800000
	s_mov_b32 s23, 0x3f317217
	;; [unrolled: 1-line block ×4, first 2 shown]
	v_mov_b32_e32 v45, 0x4f800000
	v_mov_b32_e32 v46, 0x41b17218
	s_mov_b32 s26, s14
	v_mov_b32_e32 v47, v16
	v_mov_b32_e32 v48, v17
	s_branch .LBB14_8
.LBB14_7:                               ;   in Loop: Header=BB14_8 Depth=1
	s_or_b64 exec, exec, s[6:7]
	v_add_co_u32_e32 v16, vcc, s13, v16
	v_addc_co_u32_e32 v17, vcc, 0, v17, vcc
	v_mov_b32_e32 v9, v0
	s_add_i32 s26, s26, s21
	v_cmp_le_i64_e32 vcc, s[2:3], v[16:17]
	v_pk_mov_b32 v[2:3], v[6:7], v[6:7] op_sel:[0,1]
	s_or_b64 s[4:5], vcc, s[4:5]
	v_pk_mov_b32 v[4:5], v[8:9], v[8:9] op_sel:[0,1]
	s_barrier
	s_andn2_b64 exec, exec, s[4:5]
	s_cbranch_execz .LBB14_26
.LBB14_8:                               ; =>This Inner Loop Header: Depth=1
	v_add_co_u32_e32 v29, vcc, 1, v29
	v_cndmask_b32_e64 v0, 0, 1, vcc
	v_addc_co_u32_e32 v30, vcc, 0, v30, vcc
	v_cmp_eq_u32_e32 vcc, 0, v30
	v_cndmask_b32_e32 v0, 0, v0, vcc
	v_add_u32_e32 v47, v0, v47
	v_cmp_eq_u32_e32 vcc, 0, v47
	v_cndmask_b32_e32 v0, 0, v0, vcc
	v_add_u32_e32 v48, v0, v48
	v_mad_u64_u32 v[0:1], s[6:7], v29, s15, 0
	v_mad_u64_u32 v[6:7], s[6:7], v47, s16, 0
	v_xor_b32_e32 v1, v1, v15
	v_xor_b32_e32 v7, v7, v14
	v_xor_b32_e32 v1, v48, v1
	v_xor_b32_e32 v7, v30, v7
	v_mad_u64_u32 v[10:11], s[6:7], v1, s16, 0
	v_mad_u64_u32 v[8:9], s[6:7], v7, s15, 0
	v_xor_b32_e32 v1, v28, v11
	v_xor_b32_e32 v1, v1, v6
	v_xor_b32_e32 v6, v31, v9
	v_xor_b32_e32 v6, v6, v0
	v_mad_u64_u32 v[0:1], s[6:7], v1, s15, 0
	v_mad_u64_u32 v[6:7], s[6:7], v6, s16, 0
	v_xor_b32_e32 v1, v27, v1
	v_xor_b32_e32 v7, v32, v7
	v_xor_b32_e32 v1, v1, v8
	v_xor_b32_e32 v7, v7, v10
	v_mad_u64_u32 v[10:11], s[6:7], v1, s16, 0
	v_mad_u64_u32 v[8:9], s[6:7], v7, s15, 0
	v_xor_b32_e32 v1, v26, v11
	v_xor_b32_e32 v1, v1, v6
	v_xor_b32_e32 v6, v33, v9
	v_xor_b32_e32 v6, v6, v0
	v_mad_u64_u32 v[0:1], s[6:7], v1, s15, 0
	v_mad_u64_u32 v[6:7], s[6:7], v6, s16, 0
	v_xor_b32_e32 v1, v25, v1
	v_xor_b32_e32 v7, v34, v7
	v_xor_b32_e32 v1, v1, v8
	v_xor_b32_e32 v7, v7, v10
	v_mad_u64_u32 v[10:11], s[6:7], v1, s16, 0
	v_mad_u64_u32 v[8:9], s[6:7], v7, s15, 0
	v_xor_b32_e32 v1, v24, v11
	v_xor_b32_e32 v1, v1, v6
	v_xor_b32_e32 v6, v35, v9
	v_xor_b32_e32 v6, v6, v0
	v_mad_u64_u32 v[0:1], s[6:7], v1, s15, 0
	v_mad_u64_u32 v[6:7], s[6:7], v6, s16, 0
	v_xor_b32_e32 v1, v23, v1
	v_xor_b32_e32 v7, v36, v7
	v_xor_b32_e32 v1, v1, v8
	v_xor_b32_e32 v7, v7, v10
	v_mad_u64_u32 v[10:11], s[6:7], v1, s16, 0
	v_mad_u64_u32 v[8:9], s[6:7], v7, s15, 0
	v_xor_b32_e32 v1, v22, v11
	v_xor_b32_e32 v1, v1, v6
	v_xor_b32_e32 v6, v37, v9
	v_xor_b32_e32 v0, v6, v0
	v_mad_u64_u32 v[6:7], s[6:7], v0, s16, 0
	v_mad_u64_u32 v[50:51], s[6:7], v1, s15, 0
	v_xor_b32_e32 v0, v38, v7
	v_xor_b32_e32 v0, v0, v10
	v_xor_b32_e32 v1, v21, v51
	v_xor_b32_e32 v7, v1, v8
	v_mad_u64_u32 v[0:1], s[6:7], v0, s15, 0
	v_mad_u64_u32 v[12:13], s[6:7], v7, s16, 0
	v_xor_b32_e32 v1, v1, v50
	v_xor_b32_e32 v6, v13, v6
	v_xor_b32_e32 v13, v20, v1
	v_xor_b32_e32 v6, v19, v6
	v_mov_b32_e32 v7, v12
	v_mov_b32_e32 v8, v13
	v_cmp_lt_i32_e32 vcc, 1, v18
	s_and_saveexec_b64 s[6:7], vcc
	s_xor_b64 s[6:7], exec, s[6:7]
	s_cbranch_execnz .LBB14_18
; %bb.9:                                ;   in Loop: Header=BB14_8 Depth=1
	s_andn2_saveexec_b64 s[6:7], s[6:7]
	s_cbranch_execnz .LBB14_23
.LBB14_10:                              ;   in Loop: Header=BB14_8 Depth=1
	s_or_b64 exec, exec, s[6:7]
	v_cmp_gt_i64_e32 vcc, s[0:1], v[16:17]
	s_and_saveexec_b64 s[6:7], vcc
	s_cbranch_execz .LBB14_12
.LBB14_11:                              ;   in Loop: Header=BB14_8 Depth=1
	v_cvt_f32_u32_e32 v1, v2
	v_mov_b32_e32 v2, 0x2f800000
	v_mov_b32_e32 v11, s9
	v_fmac_f32_e32 v2, 0x2f800000, v1
	v_cmp_gt_f32_e32 vcc, s22, v2
	v_cndmask_b32_e32 v1, 1.0, v45, vcc
	v_mul_f32_e32 v1, v2, v1
	v_log_f32_e32 v1, v1
	v_cndmask_b32_e32 v2, 0, v46, vcc
	v_mul_f32_e32 v9, 0x3f317217, v1
	v_fma_f32 v10, v1, s23, -v9
	v_fmac_f32_e32 v10, 0x3377d1cf, v1
	v_add_f32_e32 v9, v9, v10
	v_cmp_lt_f32_e64 vcc, |v1|, s24
	v_cndmask_b32_e32 v1, v1, v9, vcc
	v_sub_f32_e32 v1, v1, v2
	v_div_scale_f32 v2, s[10:11], v39, v39, v1
	v_rcp_f32_e32 v9, v2
	v_add_u32_e32 v10, s26, v40
	v_ashrrev_i32_e32 v12, 31, v10
	v_fma_f32 v13, -v2, v9, 1.0
	v_fmac_f32_e32 v9, v13, v9
	v_div_scale_f32 v13, vcc, v1, v39, v1
	v_mul_f32_e32 v49, v13, v9
	v_fma_f32 v50, -v2, v49, v13
	v_fmac_f32_e32 v49, v50, v9
	v_fma_f32 v2, -v2, v49, v13
	v_div_fmas_f32 v2, v2, v9, v49
	v_div_fixup_f32 v1, v2, v39, v1
	v_ceil_f32_e32 v1, v1
	v_mul_f32_e64 v2, |v1|, v44
	v_floor_f32_e32 v2, v2
	v_fma_f32 v9, v2, s25, |v1|
	v_cvt_u32_f32_e32 v9, v9
	v_cvt_u32_f32_e32 v2, v2
	v_add_co_u32_e32 v10, vcc, s8, v10
	v_ashrrev_i32_e32 v1, 31, v1
	v_addc_co_u32_e32 v11, vcc, v11, v12, vcc
	v_xor_b32_e32 v9, v9, v1
	v_xor_b32_e32 v2, v2, v1
	v_sub_co_u32_e32 v12, vcc, v9, v1
	v_subb_co_u32_e32 v13, vcc, v2, v1, vcc
	global_store_dwordx2 v[10:11], v[12:13], off
.LBB14_12:                              ;   in Loop: Header=BB14_8 Depth=1
	s_or_b64 exec, exec, s[6:7]
	v_mov_b32_e32 v1, s14
	v_add_co_u32_e32 v10, vcc, s12, v16
	v_addc_co_u32_e32 v11, vcc, v1, v17, vcc
	v_cmp_gt_i64_e32 vcc, s[0:1], v[10:11]
	s_and_saveexec_b64 s[6:7], vcc
	s_cbranch_execz .LBB14_14
; %bb.13:                               ;   in Loop: Header=BB14_8 Depth=1
	v_cvt_f32_u32_e32 v1, v3
	v_mov_b32_e32 v2, 0x2f800000
	v_mov_b32_e32 v10, s9
	v_fmac_f32_e32 v2, 0x2f800000, v1
	v_cmp_gt_f32_e32 vcc, s22, v2
	v_cndmask_b32_e32 v1, 1.0, v45, vcc
	v_mul_f32_e32 v1, v2, v1
	v_log_f32_e32 v1, v1
	v_cndmask_b32_e32 v2, 0, v46, vcc
	v_mul_f32_e32 v3, 0x3f317217, v1
	v_fma_f32 v9, v1, s23, -v3
	v_fmac_f32_e32 v9, 0x3377d1cf, v1
	v_add_f32_e32 v3, v3, v9
	v_cmp_lt_f32_e64 vcc, |v1|, s24
	v_cndmask_b32_e32 v1, v1, v3, vcc
	v_sub_f32_e32 v1, v1, v2
	v_div_scale_f32 v2, s[10:11], v39, v39, v1
	v_rcp_f32_e32 v3, v2
	v_add_u32_e32 v9, s26, v43
	v_ashrrev_i32_e32 v11, 31, v9
	v_fma_f32 v12, -v2, v3, 1.0
	v_fmac_f32_e32 v3, v12, v3
	v_div_scale_f32 v12, vcc, v1, v39, v1
	v_mul_f32_e32 v13, v12, v3
	v_fma_f32 v49, -v2, v13, v12
	v_fmac_f32_e32 v13, v49, v3
	v_fma_f32 v2, -v2, v13, v12
	v_div_fmas_f32 v2, v2, v3, v13
	v_div_fixup_f32 v1, v2, v39, v1
	v_ceil_f32_e32 v1, v1
	v_mul_f32_e64 v2, |v1|, v44
	v_floor_f32_e32 v2, v2
	v_fma_f32 v3, v2, s25, |v1|
	v_cvt_u32_f32_e32 v12, v3
	v_cvt_u32_f32_e32 v13, v2
	v_add_co_u32_e32 v2, vcc, s8, v9
	v_ashrrev_i32_e32 v1, 31, v1
	v_addc_co_u32_e32 v3, vcc, v10, v11, vcc
	v_xor_b32_e32 v10, v12, v1
	v_xor_b32_e32 v9, v13, v1
	v_sub_co_u32_e32 v10, vcc, v10, v1
	v_subb_co_u32_e32 v11, vcc, v9, v1, vcc
	global_store_dwordx2 v[2:3], v[10:11], off
.LBB14_14:                              ;   in Loop: Header=BB14_8 Depth=1
	s_or_b64 exec, exec, s[6:7]
	v_mov_b32_e32 v1, s18
	v_add_co_u32_e32 v2, vcc, s17, v16
	v_addc_co_u32_e32 v3, vcc, v1, v17, vcc
	v_cmp_gt_i64_e32 vcc, s[0:1], v[2:3]
	s_and_saveexec_b64 s[6:7], vcc
	s_cbranch_execz .LBB14_16
; %bb.15:                               ;   in Loop: Header=BB14_8 Depth=1
	v_cvt_f32_u32_e32 v1, v4
	v_mov_b32_e32 v2, 0x2f800000
	v_mov_b32_e32 v9, s9
	v_fmac_f32_e32 v2, 0x2f800000, v1
	v_cmp_gt_f32_e32 vcc, s22, v2
	v_cndmask_b32_e32 v1, 1.0, v45, vcc
	v_mul_f32_e32 v1, v2, v1
	v_log_f32_e32 v1, v1
	v_cndmask_b32_e32 v2, 0, v46, vcc
	v_mul_f32_e32 v3, 0x3f317217, v1
	v_fma_f32 v4, v1, s23, -v3
	v_fmac_f32_e32 v4, 0x3377d1cf, v1
	v_add_f32_e32 v3, v3, v4
	v_cmp_lt_f32_e64 vcc, |v1|, s24
	v_cndmask_b32_e32 v1, v1, v3, vcc
	v_sub_f32_e32 v1, v1, v2
	v_div_scale_f32 v2, s[10:11], v39, v39, v1
	v_rcp_f32_e32 v3, v2
	v_add_u32_e32 v4, s26, v42
	v_ashrrev_i32_e32 v10, 31, v4
	v_fma_f32 v11, -v2, v3, 1.0
	v_fmac_f32_e32 v3, v11, v3
	v_div_scale_f32 v11, vcc, v1, v39, v1
	v_mul_f32_e32 v12, v11, v3
	v_fma_f32 v13, -v2, v12, v11
	v_fmac_f32_e32 v12, v13, v3
	v_fma_f32 v2, -v2, v12, v11
	v_div_fmas_f32 v2, v2, v3, v12
	v_div_fixup_f32 v1, v2, v39, v1
	v_ceil_f32_e32 v1, v1
	v_mul_f32_e64 v2, |v1|, v44
	v_floor_f32_e32 v2, v2
	v_fma_f32 v3, v2, s25, |v1|
	v_cvt_u32_f32_e32 v11, v3
	v_cvt_u32_f32_e32 v12, v2
	v_add_co_u32_e32 v2, vcc, s8, v4
	v_ashrrev_i32_e32 v1, 31, v1
	v_addc_co_u32_e32 v3, vcc, v9, v10, vcc
	v_xor_b32_e32 v9, v11, v1
	v_xor_b32_e32 v4, v12, v1
	v_sub_co_u32_e32 v10, vcc, v9, v1
	v_subb_co_u32_e32 v11, vcc, v4, v1, vcc
	global_store_dwordx2 v[2:3], v[10:11], off
.LBB14_16:                              ;   in Loop: Header=BB14_8 Depth=1
	s_or_b64 exec, exec, s[6:7]
	v_mov_b32_e32 v1, s20
	v_add_co_u32_e32 v2, vcc, s19, v16
	v_addc_co_u32_e32 v3, vcc, v1, v17, vcc
	v_cmp_gt_i64_e32 vcc, s[0:1], v[2:3]
	s_and_saveexec_b64 s[6:7], vcc
	s_cbranch_execz .LBB14_7
; %bb.17:                               ;   in Loop: Header=BB14_8 Depth=1
	v_cvt_f32_u32_e32 v1, v5
	v_mov_b32_e32 v2, 0x2f800000
	v_mov_b32_e32 v5, s9
	v_fmac_f32_e32 v2, 0x2f800000, v1
	v_cmp_gt_f32_e32 vcc, s22, v2
	v_cndmask_b32_e32 v1, 1.0, v45, vcc
	v_mul_f32_e32 v1, v2, v1
	v_log_f32_e32 v1, v1
	v_cndmask_b32_e32 v2, 0, v46, vcc
	v_mul_f32_e32 v3, 0x3f317217, v1
	v_fma_f32 v4, v1, s23, -v3
	v_fmac_f32_e32 v4, 0x3377d1cf, v1
	v_add_f32_e32 v3, v3, v4
	v_cmp_lt_f32_e64 vcc, |v1|, s24
	v_cndmask_b32_e32 v1, v1, v3, vcc
	v_sub_f32_e32 v1, v1, v2
	v_div_scale_f32 v2, s[10:11], v39, v39, v1
	v_rcp_f32_e32 v3, v2
	v_add_u32_e32 v4, s26, v41
	v_ashrrev_i32_e32 v9, 31, v4
	v_fma_f32 v10, -v2, v3, 1.0
	v_fmac_f32_e32 v3, v10, v3
	v_div_scale_f32 v10, vcc, v1, v39, v1
	v_mul_f32_e32 v11, v10, v3
	v_fma_f32 v12, -v2, v11, v10
	v_fmac_f32_e32 v11, v12, v3
	v_fma_f32 v2, -v2, v11, v10
	v_div_fmas_f32 v2, v2, v3, v11
	v_div_fixup_f32 v1, v2, v39, v1
	v_ceil_f32_e32 v1, v1
	v_mul_f32_e64 v2, |v1|, v44
	v_floor_f32_e32 v2, v2
	v_fma_f32 v3, v2, s25, |v1|
	v_cvt_u32_f32_e32 v10, v3
	v_cvt_u32_f32_e32 v11, v2
	v_add_co_u32_e32 v2, vcc, s8, v4
	v_ashrrev_i32_e32 v1, 31, v1
	v_addc_co_u32_e32 v3, vcc, v5, v9, vcc
	v_xor_b32_e32 v4, v10, v1
	v_xor_b32_e32 v5, v11, v1
	v_sub_co_u32_e32 v4, vcc, v4, v1
	v_subb_co_u32_e32 v5, vcc, v5, v1, vcc
	global_store_dwordx2 v[2:3], v[4:5], off
	s_branch .LBB14_7
.LBB14_18:                              ;   in Loop: Header=BB14_8 Depth=1
	v_cmp_lt_i32_e32 vcc, 2, v18
	s_and_saveexec_b64 s[10:11], vcc
	s_xor_b64 s[10:11], exec, s[10:11]
; %bb.19:                               ;   in Loop: Header=BB14_8 Depth=1
	v_mov_b32_e32 v10, v5
	v_mov_b32_e32 v11, v6
	v_pk_mov_b32 v[2:3], v[10:11], v[10:11] op_sel:[0,1]
	v_pk_mov_b32 v[4:5], v[12:13], v[12:13] op_sel:[0,1]
                                        ; implicit-def: $vgpr12_vgpr13
; %bb.20:                               ;   in Loop: Header=BB14_8 Depth=1
	s_andn2_saveexec_b64 s[10:11], s[10:11]
; %bb.21:                               ;   in Loop: Header=BB14_8 Depth=1
	v_mov_b32_e32 v2, v4
	v_mov_b32_e32 v3, v5
	;; [unrolled: 1-line block ×4, first 2 shown]
; %bb.22:                               ;   in Loop: Header=BB14_8 Depth=1
	s_or_b64 exec, exec, s[10:11]
	s_andn2_saveexec_b64 s[6:7], s[6:7]
	s_cbranch_execz .LBB14_10
.LBB14_23:                              ;   in Loop: Header=BB14_8 Depth=1
	v_cmp_eq_u32_e32 vcc, 1, v18
	s_and_saveexec_b64 s[10:11], vcc
; %bb.24:                               ;   in Loop: Header=BB14_8 Depth=1
	v_mov_b32_e32 v2, v3
	v_mov_b32_e32 v3, v4
	;; [unrolled: 1-line block ×4, first 2 shown]
; %bb.25:                               ;   in Loop: Header=BB14_8 Depth=1
	s_or_b64 exec, exec, s[10:11]
	s_or_b64 exec, exec, s[6:7]
	v_cmp_gt_i64_e32 vcc, s[0:1], v[16:17]
	s_and_saveexec_b64 s[6:7], vcc
	s_cbranch_execnz .LBB14_11
	s_branch .LBB14_12
.LBB14_26:
	s_endpgm
.LBB14_27:
                                        ; implicit-def: $sgpr8_sgpr9
	s_andn2_b64 vcc, exec, s[2:3]
	s_cbranch_vccz .LBB14_4
	s_branch .LBB14_5
	.section	.rodata,"a",@progbits
	.p2align	6, 0x0
	.amdhsa_kernel _ZN2at6native12_GLOBAL__N_143distribution_elementwise_grid_stride_kernelIfLi4EZNS0_9templates4cuda21uniform_and_transformIlfPNS_17CUDAGeneratorImplEZZZNS4_16geometric_kernelIS7_EEvRNS_18TensorIteratorBaseEdT_ENKUlvE_clEvENKUlvE2_clEvEUlfE_EEvSA_T1_T2_EUlP25hiprandStatePhilox4_32_10E0_ZNS1_27distribution_nullary_kernelIlf15HIP_vector_typeIfLj4EES7_SJ_SE_EEvSA_SG_RKT3_T4_EUlifE_EEvlNS_15PhiloxCudaStateESF_SG_
		.amdhsa_group_segment_fixed_size 0
		.amdhsa_private_segment_fixed_size 0
		.amdhsa_kernarg_size 328
		.amdhsa_user_sgpr_count 6
		.amdhsa_user_sgpr_private_segment_buffer 1
		.amdhsa_user_sgpr_dispatch_ptr 0
		.amdhsa_user_sgpr_queue_ptr 0
		.amdhsa_user_sgpr_kernarg_segment_ptr 1
		.amdhsa_user_sgpr_dispatch_id 0
		.amdhsa_user_sgpr_flat_scratch_init 0
		.amdhsa_user_sgpr_kernarg_preload_length 0
		.amdhsa_user_sgpr_kernarg_preload_offset 0
		.amdhsa_user_sgpr_private_segment_size 0
		.amdhsa_uses_dynamic_stack 0
		.amdhsa_system_sgpr_private_segment_wavefront_offset 0
		.amdhsa_system_sgpr_workgroup_id_x 1
		.amdhsa_system_sgpr_workgroup_id_y 0
		.amdhsa_system_sgpr_workgroup_id_z 0
		.amdhsa_system_sgpr_workgroup_info 0
		.amdhsa_system_vgpr_workitem_id 0
		.amdhsa_next_free_vgpr 52
		.amdhsa_next_free_sgpr 27
		.amdhsa_accum_offset 52
		.amdhsa_reserve_vcc 1
		.amdhsa_reserve_flat_scratch 0
		.amdhsa_float_round_mode_32 0
		.amdhsa_float_round_mode_16_64 0
		.amdhsa_float_denorm_mode_32 3
		.amdhsa_float_denorm_mode_16_64 3
		.amdhsa_dx10_clamp 1
		.amdhsa_ieee_mode 1
		.amdhsa_fp16_overflow 0
		.amdhsa_tg_split 0
		.amdhsa_exception_fp_ieee_invalid_op 0
		.amdhsa_exception_fp_denorm_src 0
		.amdhsa_exception_fp_ieee_div_zero 0
		.amdhsa_exception_fp_ieee_overflow 0
		.amdhsa_exception_fp_ieee_underflow 0
		.amdhsa_exception_fp_ieee_inexact 0
		.amdhsa_exception_int_div_zero 0
	.end_amdhsa_kernel
	.section	.text._ZN2at6native12_GLOBAL__N_143distribution_elementwise_grid_stride_kernelIfLi4EZNS0_9templates4cuda21uniform_and_transformIlfPNS_17CUDAGeneratorImplEZZZNS4_16geometric_kernelIS7_EEvRNS_18TensorIteratorBaseEdT_ENKUlvE_clEvENKUlvE2_clEvEUlfE_EEvSA_T1_T2_EUlP25hiprandStatePhilox4_32_10E0_ZNS1_27distribution_nullary_kernelIlf15HIP_vector_typeIfLj4EES7_SJ_SE_EEvSA_SG_RKT3_T4_EUlifE_EEvlNS_15PhiloxCudaStateESF_SG_,"axG",@progbits,_ZN2at6native12_GLOBAL__N_143distribution_elementwise_grid_stride_kernelIfLi4EZNS0_9templates4cuda21uniform_and_transformIlfPNS_17CUDAGeneratorImplEZZZNS4_16geometric_kernelIS7_EEvRNS_18TensorIteratorBaseEdT_ENKUlvE_clEvENKUlvE2_clEvEUlfE_EEvSA_T1_T2_EUlP25hiprandStatePhilox4_32_10E0_ZNS1_27distribution_nullary_kernelIlf15HIP_vector_typeIfLj4EES7_SJ_SE_EEvSA_SG_RKT3_T4_EUlifE_EEvlNS_15PhiloxCudaStateESF_SG_,comdat
.Lfunc_end14:
	.size	_ZN2at6native12_GLOBAL__N_143distribution_elementwise_grid_stride_kernelIfLi4EZNS0_9templates4cuda21uniform_and_transformIlfPNS_17CUDAGeneratorImplEZZZNS4_16geometric_kernelIS7_EEvRNS_18TensorIteratorBaseEdT_ENKUlvE_clEvENKUlvE2_clEvEUlfE_EEvSA_T1_T2_EUlP25hiprandStatePhilox4_32_10E0_ZNS1_27distribution_nullary_kernelIlf15HIP_vector_typeIfLj4EES7_SJ_SE_EEvSA_SG_RKT3_T4_EUlifE_EEvlNS_15PhiloxCudaStateESF_SG_, .Lfunc_end14-_ZN2at6native12_GLOBAL__N_143distribution_elementwise_grid_stride_kernelIfLi4EZNS0_9templates4cuda21uniform_and_transformIlfPNS_17CUDAGeneratorImplEZZZNS4_16geometric_kernelIS7_EEvRNS_18TensorIteratorBaseEdT_ENKUlvE_clEvENKUlvE2_clEvEUlfE_EEvSA_T1_T2_EUlP25hiprandStatePhilox4_32_10E0_ZNS1_27distribution_nullary_kernelIlf15HIP_vector_typeIfLj4EES7_SJ_SE_EEvSA_SG_RKT3_T4_EUlifE_EEvlNS_15PhiloxCudaStateESF_SG_
                                        ; -- End function
	.section	.AMDGPU.csdata,"",@progbits
; Kernel info:
; codeLenInByte = 3804
; NumSgprs: 31
; NumVgprs: 52
; NumAgprs: 0
; TotalNumVgprs: 52
; ScratchSize: 0
; MemoryBound: 0
; FloatMode: 240
; IeeeMode: 1
; LDSByteSize: 0 bytes/workgroup (compile time only)
; SGPRBlocks: 3
; VGPRBlocks: 6
; NumSGPRsForWavesPerEU: 31
; NumVGPRsForWavesPerEU: 52
; AccumOffset: 52
; Occupancy: 8
; WaveLimiterHint : 0
; COMPUTE_PGM_RSRC2:SCRATCH_EN: 0
; COMPUTE_PGM_RSRC2:USER_SGPR: 6
; COMPUTE_PGM_RSRC2:TRAP_HANDLER: 0
; COMPUTE_PGM_RSRC2:TGID_X_EN: 1
; COMPUTE_PGM_RSRC2:TGID_Y_EN: 0
; COMPUTE_PGM_RSRC2:TGID_Z_EN: 0
; COMPUTE_PGM_RSRC2:TIDIG_COMP_CNT: 0
; COMPUTE_PGM_RSRC3_GFX90A:ACCUM_OFFSET: 12
; COMPUTE_PGM_RSRC3_GFX90A:TG_SPLIT: 0
	.section	.text._ZN2at6native12_GLOBAL__N_143distribution_elementwise_grid_stride_kernelIfLi4EZNS0_9templates4cuda21uniform_and_transformIlfPNS_17CUDAGeneratorImplEZZZNS4_16geometric_kernelIS7_EEvRNS_18TensorIteratorBaseEdT_ENKUlvE_clEvENKUlvE2_clEvEUlfE_EEvSA_T1_T2_EUlP25hiprandStatePhilox4_32_10E0_ZNS1_27distribution_nullary_kernelIlf15HIP_vector_typeIfLj4EES7_SJ_SE_EEvSA_SG_RKT3_T4_EUlifE0_EEvlNS_15PhiloxCudaStateESF_SG_,"axG",@progbits,_ZN2at6native12_GLOBAL__N_143distribution_elementwise_grid_stride_kernelIfLi4EZNS0_9templates4cuda21uniform_and_transformIlfPNS_17CUDAGeneratorImplEZZZNS4_16geometric_kernelIS7_EEvRNS_18TensorIteratorBaseEdT_ENKUlvE_clEvENKUlvE2_clEvEUlfE_EEvSA_T1_T2_EUlP25hiprandStatePhilox4_32_10E0_ZNS1_27distribution_nullary_kernelIlf15HIP_vector_typeIfLj4EES7_SJ_SE_EEvSA_SG_RKT3_T4_EUlifE0_EEvlNS_15PhiloxCudaStateESF_SG_,comdat
	.globl	_ZN2at6native12_GLOBAL__N_143distribution_elementwise_grid_stride_kernelIfLi4EZNS0_9templates4cuda21uniform_and_transformIlfPNS_17CUDAGeneratorImplEZZZNS4_16geometric_kernelIS7_EEvRNS_18TensorIteratorBaseEdT_ENKUlvE_clEvENKUlvE2_clEvEUlfE_EEvSA_T1_T2_EUlP25hiprandStatePhilox4_32_10E0_ZNS1_27distribution_nullary_kernelIlf15HIP_vector_typeIfLj4EES7_SJ_SE_EEvSA_SG_RKT3_T4_EUlifE0_EEvlNS_15PhiloxCudaStateESF_SG_ ; -- Begin function _ZN2at6native12_GLOBAL__N_143distribution_elementwise_grid_stride_kernelIfLi4EZNS0_9templates4cuda21uniform_and_transformIlfPNS_17CUDAGeneratorImplEZZZNS4_16geometric_kernelIS7_EEvRNS_18TensorIteratorBaseEdT_ENKUlvE_clEvENKUlvE2_clEvEUlfE_EEvSA_T1_T2_EUlP25hiprandStatePhilox4_32_10E0_ZNS1_27distribution_nullary_kernelIlf15HIP_vector_typeIfLj4EES7_SJ_SE_EEvSA_SG_RKT3_T4_EUlifE0_EEvlNS_15PhiloxCudaStateESF_SG_
	.p2align	8
	.type	_ZN2at6native12_GLOBAL__N_143distribution_elementwise_grid_stride_kernelIfLi4EZNS0_9templates4cuda21uniform_and_transformIlfPNS_17CUDAGeneratorImplEZZZNS4_16geometric_kernelIS7_EEvRNS_18TensorIteratorBaseEdT_ENKUlvE_clEvENKUlvE2_clEvEUlfE_EEvSA_T1_T2_EUlP25hiprandStatePhilox4_32_10E0_ZNS1_27distribution_nullary_kernelIlf15HIP_vector_typeIfLj4EES7_SJ_SE_EEvSA_SG_RKT3_T4_EUlifE0_EEvlNS_15PhiloxCudaStateESF_SG_,@function
_ZN2at6native12_GLOBAL__N_143distribution_elementwise_grid_stride_kernelIfLi4EZNS0_9templates4cuda21uniform_and_transformIlfPNS_17CUDAGeneratorImplEZZZNS4_16geometric_kernelIS7_EEvRNS_18TensorIteratorBaseEdT_ENKUlvE_clEvENKUlvE2_clEvEUlfE_EEvSA_T1_T2_EUlP25hiprandStatePhilox4_32_10E0_ZNS1_27distribution_nullary_kernelIlf15HIP_vector_typeIfLj4EES7_SJ_SE_EEvSA_SG_RKT3_T4_EUlifE0_EEvlNS_15PhiloxCudaStateESF_SG_: ; @_ZN2at6native12_GLOBAL__N_143distribution_elementwise_grid_stride_kernelIfLi4EZNS0_9templates4cuda21uniform_and_transformIlfPNS_17CUDAGeneratorImplEZZZNS4_16geometric_kernelIS7_EEvRNS_18TensorIteratorBaseEdT_ENKUlvE_clEvENKUlvE2_clEvEUlfE_EEvSA_T1_T2_EUlP25hiprandStatePhilox4_32_10E0_ZNS1_27distribution_nullary_kernelIlf15HIP_vector_typeIfLj4EES7_SJ_SE_EEvSA_SG_RKT3_T4_EUlifE0_EEvlNS_15PhiloxCudaStateESF_SG_
; %bb.0:
	s_load_dword s2, s[4:5], 0x20
	s_load_dwordx2 s[0:1], s[4:5], 0x10
	s_load_dwordx4 s[24:27], s[4:5], 0x0
	s_waitcnt lgkmcnt(0)
	s_bitcmp0_b32 s2, 0
	s_mov_b32 s2, 0
	v_pk_mov_b32 v[2:3], s[0:1], s[0:1] op_sel:[0,1]
	v_pk_mov_b32 v[12:13], s[26:27], s[26:27] op_sel:[0,1]
	s_cbranch_scc1 .LBB15_2
; %bb.1:
	v_pk_mov_b32 v[2:3], s[0:1], s[0:1] op_sel:[0,1]
	flat_load_dwordx2 v[2:3], v[2:3]
	v_pk_mov_b32 v[4:5], s[26:27], s[26:27] op_sel:[0,1]
	flat_load_dwordx2 v[12:13], v[4:5]
	s_load_dwordx2 s[0:1], s[4:5], 0x18
	s_waitcnt lgkmcnt(0)
	v_mov_b32_e32 v1, s1
	s_waitcnt vmcnt(0)
	v_add_co_u32_e32 v2, vcc, s0, v2
	v_addc_co_u32_e32 v3, vcc, v3, v1, vcc
.LBB15_2:
	s_load_dword s0, s[4:5], 0x154
	s_load_dword s7, s[4:5], 0x148
	s_waitcnt lgkmcnt(0)
	s_and_b32 s8, s0, 0xffff
	s_add_u32 s9, s24, -1
	s_mul_i32 s33, s7, s8
	s_addc_u32 s3, s25, -1
	s_lshl_b32 s58, s33, 2
	s_cmp_lg_u64 s[2:3], 0
	s_mov_b64 s[0:1], -1
	s_cbranch_scc0 .LBB15_83
; %bb.3:
	v_cvt_f32_u32_e32 v1, s58
	v_cvt_f32_ubyte0_e32 v4, 0
	s_sub_u32 s2, 0, s58
	s_subb_u32 s10, 0, 0
	v_madmk_f32 v1, v4, 0x4f800000, v1
	v_rcp_f32_e32 v1, v1
	v_mul_f32_e32 v1, 0x5f7ffffc, v1
	v_mul_f32_e32 v4, 0x2f800000, v1
	v_trunc_f32_e32 v4, v4
	v_madmk_f32 v1, v4, 0xcf800000, v1
	v_cvt_u32_f32_e32 v4, v4
	v_cvt_u32_f32_e32 v1, v1
	v_readfirstlane_b32 s11, v4
	v_readfirstlane_b32 s12, v1
	s_mul_i32 s13, s2, s11
	s_mul_hi_u32 s15, s2, s12
	s_mul_i32 s14, s10, s12
	s_add_i32 s13, s15, s13
	s_add_i32 s13, s13, s14
	s_mul_i32 s16, s2, s12
	s_mul_hi_u32 s14, s12, s13
	s_mul_i32 s15, s12, s13
	s_mul_hi_u32 s12, s12, s16
	s_add_u32 s12, s12, s15
	s_addc_u32 s14, 0, s14
	s_mul_hi_u32 s17, s11, s16
	s_mul_i32 s16, s11, s16
	s_add_u32 s12, s12, s16
	s_mul_hi_u32 s15, s11, s13
	s_addc_u32 s12, s14, s17
	s_addc_u32 s14, s15, 0
	s_mul_i32 s13, s11, s13
	s_add_u32 s12, s12, s13
	s_addc_u32 s13, 0, s14
	v_add_co_u32_e32 v1, vcc, s12, v1
	s_cmp_lg_u64 vcc, 0
	s_addc_u32 s11, s11, s13
	v_readfirstlane_b32 s13, v1
	s_mul_i32 s12, s2, s11
	s_mul_hi_u32 s14, s2, s13
	s_add_i32 s12, s14, s12
	s_mul_i32 s10, s10, s13
	s_add_i32 s12, s12, s10
	s_mul_i32 s2, s2, s13
	s_mul_hi_u32 s14, s11, s2
	s_mul_i32 s15, s11, s2
	s_mul_i32 s17, s13, s12
	s_mul_hi_u32 s2, s13, s2
	s_mul_hi_u32 s16, s13, s12
	s_add_u32 s2, s2, s17
	s_addc_u32 s13, 0, s16
	s_add_u32 s2, s2, s15
	s_mul_hi_u32 s10, s11, s12
	s_addc_u32 s2, s13, s14
	s_addc_u32 s10, s10, 0
	s_mul_i32 s12, s11, s12
	s_add_u32 s2, s2, s12
	s_addc_u32 s10, 0, s10
	v_add_co_u32_e32 v1, vcc, s2, v1
	s_cmp_lg_u64 vcc, 0
	s_addc_u32 s12, s11, s10
	s_ashr_i32 s10, s3, 31
	s_add_u32 s2, s9, s10
	s_mov_b32 s11, s10
	s_addc_u32 s3, s3, s10
	s_xor_b64 s[2:3], s[2:3], s[10:11]
	v_readfirstlane_b32 s15, v1
	s_mul_i32 s14, s2, s12
	s_mul_hi_u32 s16, s2, s15
	s_mul_hi_u32 s13, s2, s12
	s_add_u32 s14, s16, s14
	s_addc_u32 s13, 0, s13
	s_mul_hi_u32 s17, s3, s15
	s_mul_i32 s15, s3, s15
	s_add_u32 s14, s14, s15
	s_mul_hi_u32 s16, s3, s12
	s_addc_u32 s13, s13, s17
	s_addc_u32 s14, s16, 0
	s_mul_i32 s12, s3, s12
	s_add_u32 s12, s13, s12
	s_addc_u32 s13, 0, s14
	s_add_u32 s14, s12, 1
	s_addc_u32 s15, s13, 0
	s_add_u32 s16, s12, 2
	s_mul_i32 s18, s58, s13
	s_mul_hi_u32 s19, s58, s12
	s_addc_u32 s17, s13, 0
	s_add_i32 s19, s19, s18
	s_mul_i32 s18, s58, s12
	v_mov_b32_e32 v1, s18
	v_sub_co_u32_e32 v1, vcc, s2, v1
	s_cmp_lg_u64 vcc, 0
	s_subb_u32 s2, s3, s19
	v_subrev_co_u32_e32 v4, vcc, s58, v1
	s_cmp_lg_u64 vcc, 0
	s_subb_u32 s3, s2, 0
	v_readfirstlane_b32 s18, v4
	s_cmp_ge_u32 s18, s58
	s_cselect_b32 s18, -1, 0
	s_cmp_eq_u32 s3, 0
	s_cselect_b32 s3, s18, -1
	s_cmp_lg_u32 s3, 0
	s_cselect_b32 s3, s17, s15
	v_readfirstlane_b32 s15, v1
	s_cselect_b32 s14, s16, s14
	s_cmp_ge_u32 s15, s58
	s_cselect_b32 s15, -1, 0
	s_cmp_eq_u32 s2, 0
	s_cselect_b32 s2, s15, -1
	s_cmp_lg_u32 s2, 0
	s_cselect_b32 s3, s3, s13
	s_cselect_b32 s2, s14, s12
	s_xor_b64 s[2:3], s[2:3], s[10:11]
	s_sub_u32 s2, s2, s10
	s_subb_u32 s3, s3, s10
	s_cbranch_execnz .LBB15_5
.LBB15_4:
	v_cvt_f32_u32_e32 v1, s58
	s_sub_i32 s0, 0, s58
	s_mov_b32 s3, 0
	v_rcp_iflag_f32_e32 v1, v1
	v_mul_f32_e32 v1, 0x4f7ffffe, v1
	v_cvt_u32_f32_e32 v1, v1
	v_readfirstlane_b32 s1, v1
	s_mul_i32 s0, s0, s1
	s_mul_hi_u32 s0, s1, s0
	s_add_i32 s1, s1, s0
	s_mul_hi_u32 s0, s9, s1
	s_mul_i32 s2, s0, s58
	s_sub_i32 s2, s9, s2
	s_add_i32 s1, s0, 1
	s_sub_i32 s9, s2, s58
	s_cmp_ge_u32 s2, s58
	s_cselect_b32 s0, s1, s0
	s_cselect_b32 s2, s9, s2
	s_add_i32 s1, s0, 1
	s_cmp_ge_u32 s2, s58
	s_cselect_b32 s2, s1, s0
.LBB15_5:
	v_mov_b32_e32 v1, 0
	v_mov_b32_e32 v4, s6
	v_mad_u64_u32 v[14:15], s[0:1], s8, v4, v[0:1]
	s_add_u32 s0, s2, 1
	s_addc_u32 s1, s3, 0
	s_mul_hi_u32 s2, s7, s8
	s_mul_i32 s1, s33, s1
	s_mul_hi_u32 s3, s33, s0
	s_add_i32 s1, s3, s1
	s_mul_i32 s2, s2, s0
	s_add_i32 s1, s1, s2
	s_mul_i32 s0, s33, s0
	s_lshl_b64 s[26:27], s[0:1], 2
	v_cmp_gt_i64_e32 vcc, s[26:27], v[14:15]
	s_and_saveexec_b64 s[0:1], vcc
	s_cbranch_execz .LBB15_82
; %bb.6:
	s_mov_b32 s0, 0x5384540f
	v_mov_b32_e32 v0, v13
	v_add_co_u32_e32 v22, vcc, s0, v12
	s_mov_b32 s0, 0x646e171e
	v_add_co_u32_e32 v23, vcc, s0, v0
	s_mov_b32 s0, 0x1715609d
	;; [unrolled: 2-line block ×6, first 2 shown]
	v_alignbit_b32 v29, v3, v2, 2
	s_mov_b32 s60, 0xd2511f53
	v_add_co_u32_e32 v28, vcc, s0, v12
	v_mad_u64_u32 v[4:5], s[0:1], v29, s60, 0
	v_xor_b32_e32 v1, v5, v13
	v_xor_b32_e32 v1, v1, v15
	s_mov_b32 s61, 0xcd9e8d57
	v_mad_u64_u32 v[6:7], s[0:1], v1, s61, 0
	v_xor_b32_e32 v1, v28, v7
	v_mad_u64_u32 v[8:9], s[0:1], v14, s61, 0
	v_and_b32_e32 v18, 3, v2
	v_xor_b32_e32 v1, v1, v8
	v_xor_b32_e32 v2, v12, v9
	v_lshrrev_b32_e32 v30, 2, v3
	v_mad_u64_u32 v[10:11], s[0:1], v1, s60, 0
	v_xor_b32_e32 v2, v2, v30
	v_xor_b32_e32 v1, v27, v11
	v_mad_u64_u32 v[2:3], s[0:1], v2, s60, 0
	v_xor_b32_e32 v1, v1, v2
	v_mad_u64_u32 v[8:9], s[0:1], v1, s61, 0
	s_mov_b32 s0, 0xbb67ae85
	v_add_co_u32_e32 v31, vcc, s0, v0
	v_xor_b32_e32 v2, v31, v3
	v_xor_b32_e32 v2, v2, v4
	v_xor_b32_e32 v1, v26, v9
	v_mad_u64_u32 v[2:3], s[0:1], v2, s61, 0
	v_xor_b32_e32 v1, v1, v2
	v_mad_u64_u32 v[4:5], s[0:1], v1, s60, 0
	s_mov_b32 s0, 0x3c6ef372
	v_add_co_u32_e32 v32, vcc, s0, v12
	v_xor_b32_e32 v2, v32, v3
	;; [unrolled: 8-line block ×6, first 2 shown]
	v_add_co_u32_e32 v21, vcc, 0xdb3d7428, v0
	v_xor_b32_e32 v2, v2, v6
	v_xor_b32_e32 v1, v21, v5
	v_mad_u64_u32 v[2:3], s[0:1], v2, s60, 0
	v_xor_b32_e32 v1, v1, v2
	v_mad_u64_u32 v[6:7], s[0:1], v1, s61, 0
	s_mov_b32 s0, 0x1fd5c5a3
	v_add_co_u32_e32 v37, vcc, s0, v0
	v_xor_b32_e32 v0, v37, v3
	v_xor_b32_e32 v0, v0, v10
	v_mad_u64_u32 v[0:1], s[0:1], v0, s61, 0
	s_mov_b32 s0, 0xf1bbcdc8
	v_add_co_u32_e32 v38, vcc, s0, v12
	s_load_dwordx2 s[46:47], s[4:5], 0xf4
	s_load_dwordx4 s[28:31], s[4:5], 0x138
	v_xor_b32_e32 v1, v38, v1
	v_xor_b32_e32 v1, v1, v8
	v_mad_u64_u32 v[8:9], s[0:1], v1, s60, 0
	v_add_u32_e32 v20, 0x96a522ad, v13
	v_xor_b32_e32 v1, v9, v4
	v_xor_b32_e32 v2, v20, v1
	v_mov_b32_e32 v1, v6
	s_waitcnt lgkmcnt(0)
	v_cvt_f32_f64_e32 v6, s[30:31]
	v_xor_b32_e32 v0, v7, v0
	v_sub_f32_e32 v7, 1.0, v6
	v_add_f32_e32 v4, -1.0, v7
	v_sub_f32_e32 v5, v4, v7
	v_add_f32_e32 v5, 1.0, v5
	v_sub_f32_e64 v4, -v6, v4
	v_mov_b32_e32 v3, v8
	v_add_f32_e32 v8, v4, v5
	v_frexp_mant_f32_e32 v9, v7
	s_mov_b32 s0, 0x3f2aaaab
	v_cvt_f64_f32_e32 v[4:5], v7
	v_frexp_exp_i32_f64_e32 v4, v[4:5]
	v_cmp_gt_f32_e32 vcc, s0, v9
	v_subbrev_co_u32_e32 v4, vcc, 0, v4, vcc
	v_sub_u32_e32 v5, 0, v4
	v_ldexp_f32 v7, v7, v5
	v_ldexp_f32 v5, v8, v5
	v_add_f32_e32 v8, -1.0, v7
	v_add_f32_e32 v11, 1.0, v7
	v_add_f32_e32 v9, 1.0, v8
	v_add_f32_e32 v16, -1.0, v11
	v_sub_f32_e32 v9, v7, v9
	v_sub_f32_e32 v7, v7, v16
	v_add_f32_e32 v9, v5, v9
	v_add_f32_e32 v5, v5, v7
	;; [unrolled: 1-line block ×3, first 2 shown]
	v_rcp_f32_e32 v16, v7
	v_add_f32_e32 v10, v8, v9
	v_sub_f32_e32 v8, v10, v8
	v_sub_f32_e32 v8, v9, v8
	;; [unrolled: 1-line block ×4, first 2 shown]
	v_mul_f32_e32 v9, v10, v16
	v_mul_f32_e32 v11, v7, v9
	v_fma_f32 v17, v9, v7, -v11
	v_fmac_f32_e32 v17, v9, v5
	v_add_f32_e32 v39, v11, v17
	v_sub_f32_e32 v40, v10, v39
	v_sub_f32_e32 v10, v10, v40
	;; [unrolled: 1-line block ×4, first 2 shown]
	v_add_f32_e32 v8, v8, v10
	v_sub_f32_e32 v10, v11, v17
	v_add_f32_e32 v8, v10, v8
	v_add_f32_e32 v10, v40, v8
	v_mul_f32_e32 v11, v16, v10
	v_mul_f32_e32 v17, v7, v11
	v_fma_f32 v7, v11, v7, -v17
	v_fmac_f32_e32 v7, v11, v5
	v_sub_f32_e32 v5, v40, v10
	v_add_f32_e32 v5, v8, v5
	v_add_f32_e32 v8, v17, v7
	v_sub_f32_e32 v39, v10, v8
	v_sub_f32_e32 v10, v10, v39
	;; [unrolled: 1-line block ×4, first 2 shown]
	v_add_f32_e32 v5, v5, v8
	v_sub_f32_e32 v7, v17, v7
	v_add_f32_e32 v5, v7, v5
	v_add_f32_e32 v7, v9, v11
	v_add_f32_e32 v5, v39, v5
	v_sub_f32_e32 v8, v7, v9
	v_mul_f32_e32 v5, v16, v5
	v_sub_f32_e32 v8, v11, v8
	v_add_f32_e32 v5, v8, v5
	v_cvt_f32_i32_e32 v4, v4
	v_add_f32_e32 v8, v7, v5
	v_mul_f32_e32 v9, v8, v8
	v_mov_b32_e32 v10, 0x3ecc95a3
	v_fmac_f32_e32 v10, 0x3e9b6dac, v9
	v_mov_b32_e32 v11, 0x3f2aaada
	v_fmac_f32_e32 v11, v9, v10
	s_mov_b32 s0, 0x3f317218
	v_mul_f32_e32 v10, 0x3f317218, v4
	v_fma_f32 v16, v4, s0, -v10
	v_fmac_f32_e32 v16, 0xb102e308, v4
	v_sub_f32_e32 v4, v8, v7
	v_sub_f32_e32 v4, v5, v4
	v_add_f32_e32 v5, v10, v16
	v_sub_f32_e32 v7, v5, v10
	v_ldexp_f32 v10, v8, 1
	v_mul_f32_e32 v8, v8, v9
	v_mul_f32_e32 v8, v8, v11
	v_add_f32_e32 v9, v10, v8
	v_sub_f32_e32 v10, v9, v10
	v_ldexp_f32 v4, v4, 1
	v_sub_f32_e32 v8, v8, v10
	v_add_f32_e32 v4, v4, v8
	v_add_f32_e32 v8, v9, v4
	v_sub_f32_e32 v9, v8, v9
	s_load_dwordx8 s[8:15], s[4:5], 0x30
	v_sub_f32_e32 v4, v4, v9
	v_add_f32_e32 v9, v5, v8
	v_sub_f32_e32 v10, v9, v5
	v_sub_f32_e32 v11, v9, v10
	;; [unrolled: 1-line block ×5, first 2 shown]
	s_add_u32 s34, s4, 48
	v_add_f32_e32 v5, v8, v5
	v_add_f32_e32 v8, v7, v4
	s_addc_u32 s35, s5, 0
	s_waitcnt lgkmcnt(0)
	s_add_i32 s2, s8, -1
	v_sub_f32_e32 v10, v8, v7
	s_cmp_gt_u32 s2, 1
	v_sub_f32_e32 v11, v8, v10
	s_cselect_b64 s[40:41], -1, 0
	s_cmp_lg_u32 s8, 0
	v_sub_f32_e32 v7, v7, v11
	v_sub_f32_e32 v4, v4, v10
	v_add_f32_e32 v5, v8, v5
	s_cselect_b64 s[42:43], -1, 0
	s_add_u32 s44, s4, 0xf4
	v_add_f32_e32 v4, v4, v7
	v_add_f32_e32 v7, v9, v5
	s_addc_u32 s45, s5, 0
	s_min_u32 s3, s2, 15
	v_sub_f32_e32 v8, v7, v9
	s_cmp_gt_u32 s8, 1
	v_sub_f32_e32 v5, v5, v8
	s_cselect_b64 s[48:49], -1, 0
	v_add_f32_e32 v4, v4, v5
	s_mov_b32 s0, 0xff800000
	s_add_i32 s3, s3, 1
	s_mov_b32 s8, s13
	v_add_f32_e32 v4, v7, v4
	v_cmp_eq_f32_e32 vcc, s0, v6
	s_lshl_b32 s13, s33, 1
	s_and_b32 s64, s3, 3
	v_cndmask_b32_e64 v4, v4, -v6, vcc
	v_mov_b32_e32 v5, 0x7fc00000
	v_cmp_nlt_f32_e32 vcc, 1.0, v6
	s_cmp_lg_u32 s2, 2
	v_cndmask_b32_e32 v4, v5, v4, vcc
	v_mov_b32_e32 v5, 0xff800000
	v_cmp_neq_f32_e32 vcc, 1.0, v6
	s_mov_b32 s0, 0x33800000
	s_cselect_b64 s[30:31], -1, 0
	s_and_b32 s65, s3, 28
	s_mov_b32 s59, 0
	v_add_u32_e32 v19, 0x8ff34781, v12
	v_cndmask_b32_e32 v4, v5, v4, vcc
	v_cmp_lt_f32_e64 s[0:1], |v6|, s0
	s_cmp_lg_u32 s64, 0
	v_xor_b32_e32 v0, v19, v0
	v_cndmask_b32_e64 v39, v4, -v6, s[0:1]
	s_mov_b32 s15, s59
	s_mul_i32 s62, s33, 3
	s_mov_b32 s63, s59
	s_mov_b64 s[50:51], 0
	s_cselect_b64 s[52:53], -1, 0
	v_mov_b32_e32 v40, 0x2f800000
	s_mov_b32 s66, 0x800000
	s_mov_b32 s67, 0x3f317217
	;; [unrolled: 1-line block ×4, first 2 shown]
	v_mov_b32_e32 v41, 0x4f800000
	v_mov_b32_e32 v42, 0x41b17218
	;; [unrolled: 1-line block ×4, first 2 shown]
	s_branch .LBB15_9
.LBB15_7:                               ;   in Loop: Header=BB15_9 Depth=1
	v_cvt_f32_u32_e32 v1, v3
	v_mov_b32_e32 v2, 0x2f800000
	v_fmac_f32_e32 v2, 0x2f800000, v1
	v_cmp_gt_f32_e32 vcc, s66, v2
	v_cndmask_b32_e32 v1, 1.0, v41, vcc
	v_mul_f32_e32 v1, v2, v1
	v_log_f32_e32 v1, v1
	v_cndmask_b32_e32 v2, 0, v42, vcc
	v_mul_f32_e32 v3, 0x3f317217, v1
	v_fma_f32 v7, v1, s67, -v3
	v_fmac_f32_e32 v7, 0x3377d1cf, v1
	v_add_f32_e32 v3, v3, v7
	v_cmp_lt_f32_e64 vcc, |v1|, s68
	v_cndmask_b32_e32 v1, v1, v3, vcc
	v_sub_f32_e32 v1, v1, v2
	v_div_scale_f32 v2, s[0:1], v39, v39, v1
	v_rcp_f32_e32 v3, v2
	v_div_scale_f32 v7, vcc, v1, v39, v1
	v_fma_f32 v8, -v2, v3, 1.0
	v_fmac_f32_e32 v3, v8, v3
	v_mul_f32_e32 v8, v7, v3
	v_fma_f32 v9, -v2, v8, v7
	v_fmac_f32_e32 v8, v9, v3
	v_fma_f32 v2, -v2, v8, v7
	v_div_fmas_f32 v2, v2, v3, v8
	v_div_fixup_f32 v1, v2, v39, v1
	v_ceil_f32_e32 v1, v1
	v_mul_f32_e64 v2, |v1|, v40
	v_floor_f32_e32 v2, v2
	v_fma_f32 v3, v2, s69, |v1|
	v_cvt_u32_f32_e32 v2, v2
	v_cvt_u32_f32_e32 v3, v3
	v_ashrrev_i32_e32 v1, 31, v1
	v_xor_b32_e32 v7, v2, v1
	v_xor_b32_e32 v2, v3, v1
	v_sub_co_u32_e32 v2, vcc, v2, v1
	v_subb_co_u32_e32 v3, vcc, v7, v1, vcc
	global_store_dwordx2 v0, v[2:3], s[28:29]
.LBB15_8:                               ;   in Loop: Header=BB15_9 Depth=1
	s_or_b64 exec, exec, s[36:37]
	v_add_co_u32_e32 v14, vcc, s58, v14
	v_addc_co_u32_e32 v15, vcc, 0, v15, vcc
	v_mov_b32_e32 v7, v16
	v_cmp_le_i64_e32 vcc, s[26:27], v[14:15]
	v_pk_mov_b32 v[0:1], v[4:5], v[4:5] op_sel:[0,1]
	s_or_b64 s[50:51], vcc, s[50:51]
	v_pk_mov_b32 v[2:3], v[6:7], v[6:7] op_sel:[0,1]
	s_barrier
	s_andn2_b64 exec, exec, s[50:51]
	s_cbranch_execz .LBB15_82
.LBB15_9:                               ; =>This Loop Header: Depth=1
                                        ;     Child Loop BB15_24 Depth 2
                                        ;     Child Loop BB15_30 Depth 2
	;; [unrolled: 1-line block ×8, first 2 shown]
	v_add_co_u32_e32 v29, vcc, 1, v29
	v_cndmask_b32_e64 v4, 0, 1, vcc
	v_addc_co_u32_e32 v30, vcc, 0, v30, vcc
	v_cmp_eq_u32_e32 vcc, 0, v30
	v_cndmask_b32_e32 v4, 0, v4, vcc
	v_add_u32_e32 v43, v4, v43
	v_cmp_eq_u32_e32 vcc, 0, v43
	v_cndmask_b32_e32 v4, 0, v4, vcc
	v_add_u32_e32 v44, v4, v44
	v_mad_u64_u32 v[4:5], s[0:1], v29, s60, 0
	v_mad_u64_u32 v[6:7], s[0:1], v43, s61, 0
	v_xor_b32_e32 v5, v5, v13
	v_xor_b32_e32 v7, v7, v12
	v_xor_b32_e32 v5, v44, v5
	v_xor_b32_e32 v7, v30, v7
	v_mad_u64_u32 v[10:11], s[0:1], v5, s61, 0
	v_mad_u64_u32 v[8:9], s[0:1], v7, s60, 0
	v_xor_b32_e32 v5, v28, v11
	v_xor_b32_e32 v5, v5, v6
	v_xor_b32_e32 v6, v31, v9
	v_xor_b32_e32 v6, v6, v4
	;; [unrolled: 6-line block ×10, first 2 shown]
	v_mov_b32_e32 v5, v10
	v_mov_b32_e32 v6, v11
	v_cmp_lt_i32_e32 vcc, 1, v18
	s_and_saveexec_b64 s[0:1], vcc
	s_xor_b64 s[0:1], exec, s[0:1]
	s_cbranch_execz .LBB15_15
; %bb.10:                               ;   in Loop: Header=BB15_9 Depth=1
	v_cmp_lt_i32_e32 vcc, 2, v18
	s_and_saveexec_b64 s[2:3], vcc
	s_xor_b64 s[2:3], exec, s[2:3]
; %bb.11:                               ;   in Loop: Header=BB15_9 Depth=1
	v_mov_b32_e32 v8, v3
	v_mov_b32_e32 v9, v4
	v_pk_mov_b32 v[0:1], v[8:9], v[8:9] op_sel:[0,1]
	v_pk_mov_b32 v[2:3], v[10:11], v[10:11] op_sel:[0,1]
                                        ; implicit-def: $vgpr10_vgpr11
; %bb.12:                               ;   in Loop: Header=BB15_9 Depth=1
	s_andn2_saveexec_b64 s[2:3], s[2:3]
; %bb.13:                               ;   in Loop: Header=BB15_9 Depth=1
	v_mov_b32_e32 v0, v2
	v_mov_b32_e32 v1, v3
	;; [unrolled: 1-line block ×4, first 2 shown]
; %bb.14:                               ;   in Loop: Header=BB15_9 Depth=1
	s_or_b64 exec, exec, s[2:3]
.LBB15_15:                              ;   in Loop: Header=BB15_9 Depth=1
	s_andn2_saveexec_b64 s[0:1], s[0:1]
	s_cbranch_execz .LBB15_19
; %bb.16:                               ;   in Loop: Header=BB15_9 Depth=1
	v_cmp_eq_u32_e32 vcc, 1, v18
	s_and_saveexec_b64 s[2:3], vcc
; %bb.17:                               ;   in Loop: Header=BB15_9 Depth=1
	v_mov_b32_e32 v0, v1
	v_mov_b32_e32 v1, v2
	;; [unrolled: 1-line block ×4, first 2 shown]
; %bb.18:                               ;   in Loop: Header=BB15_9 Depth=1
	s_or_b64 exec, exec, s[2:3]
.LBB15_19:                              ;   in Loop: Header=BB15_9 Depth=1
	s_or_b64 exec, exec, s[0:1]
	v_cndmask_b32_e64 v7, 0, 1, s[40:41]
	v_cmp_gt_i64_e32 vcc, s[24:25], v[14:15]
	v_cmp_ne_u32_e64 s[0:1], 1, v7
	s_and_saveexec_b64 s[2:3], vcc
	s_cbranch_execz .LBB15_35
; %bb.20:                               ;   in Loop: Header=BB15_9 Depth=1
	s_and_b64 vcc, exec, s[0:1]
	s_cbranch_vccnz .LBB15_26
; %bb.21:                               ;   in Loop: Header=BB15_9 Depth=1
	s_andn2_b64 vcc, exec, s[42:43]
	s_cbranch_vccnz .LBB15_27
; %bb.22:                               ;   in Loop: Header=BB15_9 Depth=1
	s_mov_b32 s6, 0
	s_andn2_b64 vcc, exec, s[30:31]
	v_mov_b32_e32 v8, 0
	s_cbranch_vccnz .LBB15_28
; %bb.23:                               ;   in Loop: Header=BB15_9 Depth=1
	s_mov_b32 s70, 0
	v_mov_b32_e32 v8, 0
	s_mov_b64 s[54:55], s[34:35]
	s_mov_b64 s[56:57], s[44:45]
	v_mov_b32_e32 v7, v14
.LBB15_24:                              ;   Parent Loop BB15_9 Depth=1
                                        ; =>  This Inner Loop Header: Depth=2
	s_load_dwordx8 s[16:23], s[54:55], 0x4
	s_load_dwordx4 s[4:7], s[54:55], 0x24
	s_load_dwordx4 s[36:39], s[56:57], 0x0
	s_add_u32 s54, s54, 48
	s_addc_u32 s55, s55, 0
	s_waitcnt lgkmcnt(0)
	v_mul_hi_u32 v9, s17, v7
	v_add_u32_e32 v9, v7, v9
	v_lshrrev_b32_e32 v9, s18, v9
	v_mul_lo_u32 v10, v9, s16
	v_mul_hi_u32 v11, s20, v9
	v_sub_u32_e32 v7, v7, v10
	v_add_u32_e32 v10, v9, v11
	v_lshrrev_b32_e32 v10, s21, v10
	v_mul_lo_u32 v11, v10, s19
	v_mul_hi_u32 v17, s23, v10
	v_sub_u32_e32 v9, v9, v11
	v_add_u32_e32 v11, v10, v17
	v_mul_lo_u32 v7, v7, s36
	v_mul_lo_u32 v9, v9, s37
	v_lshrrev_b32_e32 v11, s4, v11
	v_add3_u32 v8, v7, v8, v9
	v_mul_lo_u32 v7, v11, s22
	v_mul_hi_u32 v9, s6, v11
	v_sub_u32_e32 v7, v10, v7
	v_add_u32_e32 v9, v11, v9
	v_mul_lo_u32 v10, v7, s38
	v_lshrrev_b32_e32 v7, s7, v9
	s_add_i32 s70, s70, 4
	v_mul_lo_u32 v9, v7, s5
	s_add_u32 s56, s56, 16
	v_sub_u32_e32 v9, v11, v9
	s_addc_u32 s57, s57, 0
	v_mul_lo_u32 v9, v9, s39
	s_cmp_lg_u32 s65, s70
	v_add3_u32 v8, v10, v8, v9
	s_cbranch_scc1 .LBB15_24
; %bb.25:                               ;   in Loop: Header=BB15_9 Depth=1
	s_mov_b32 s6, s65
	s_andn2_b64 vcc, exec, s[52:53]
	s_cbranch_vccz .LBB15_29
	s_branch .LBB15_31
.LBB15_26:                              ;   in Loop: Header=BB15_9 Depth=1
                                        ; implicit-def: $vgpr8
	s_branch .LBB15_32
.LBB15_27:                              ;   in Loop: Header=BB15_9 Depth=1
	v_mov_b32_e32 v8, 0
	s_branch .LBB15_31
.LBB15_28:                              ;   in Loop: Header=BB15_9 Depth=1
	v_mov_b32_e32 v7, v14
	s_andn2_b64 vcc, exec, s[52:53]
	s_cbranch_vccnz .LBB15_31
.LBB15_29:                              ;   in Loop: Header=BB15_9 Depth=1
	s_lshl_b32 s4, s6, 2
	s_add_u32 s4, s44, s4
	s_addc_u32 s5, s45, 0
	s_mul_i32 s6, s6, 12
	s_add_u32 s6, s34, s6
	s_addc_u32 s7, s35, 0
	s_mov_b32 s16, s64
.LBB15_30:                              ;   Parent Loop BB15_9 Depth=1
                                        ; =>  This Inner Loop Header: Depth=2
	s_load_dwordx2 s[18:19], s[6:7], 0x4
	s_load_dword s17, s[6:7], 0xc
	s_load_dword s20, s[4:5], 0x0
	s_add_u32 s6, s6, 12
	s_addc_u32 s7, s7, 0
	s_waitcnt lgkmcnt(0)
	v_mul_hi_u32 v9, s19, v7
	v_add_u32_e32 v9, v7, v9
	v_lshrrev_b32_e32 v9, s17, v9
	s_add_u32 s4, s4, 4
	v_mul_lo_u32 v10, v9, s18
	s_addc_u32 s5, s5, 0
	s_add_i32 s16, s16, -1
	v_sub_u32_e32 v10, v7, v10
	s_cmp_lg_u32 s16, 0
	v_mov_b32_e32 v7, v9
	v_mad_u64_u32 v[8:9], s[18:19], v10, s20, v[8:9]
	s_cbranch_scc1 .LBB15_30
.LBB15_31:                              ;   in Loop: Header=BB15_9 Depth=1
	s_cbranch_execnz .LBB15_34
.LBB15_32:                              ;   in Loop: Header=BB15_9 Depth=1
	v_mul_hi_u32 v7, v14, s10
	v_add_u32_e32 v7, v7, v14
	v_lshrrev_b32_e32 v7, s11, v7
	v_mul_lo_u32 v8, v7, s9
	v_sub_u32_e32 v8, v14, v8
	s_andn2_b64 vcc, exec, s[48:49]
	v_mul_lo_u32 v8, v8, s46
	s_cbranch_vccnz .LBB15_34
; %bb.33:                               ;   in Loop: Header=BB15_9 Depth=1
	v_mul_hi_u32 v9, s8, v7
	v_add_u32_e32 v9, v7, v9
	v_lshrrev_b32_e32 v9, s14, v9
	v_mul_lo_u32 v9, v9, s12
	v_sub_u32_e32 v7, v7, v9
	v_mad_u64_u32 v[8:9], s[4:5], v7, s47, v[8:9]
.LBB15_34:                              ;   in Loop: Header=BB15_9 Depth=1
	v_cvt_f32_u32_e32 v0, v0
	v_mov_b32_e32 v7, 0x2f800000
	v_fmac_f32_e32 v7, 0x2f800000, v0
	v_cmp_gt_f32_e32 vcc, s66, v7
	v_cndmask_b32_e32 v0, 1.0, v41, vcc
	v_mul_f32_e32 v0, v7, v0
	v_log_f32_e32 v0, v0
	v_cndmask_b32_e32 v7, 0, v42, vcc
	v_mul_f32_e32 v9, 0x3f317217, v0
	v_fma_f32 v10, v0, s67, -v9
	v_fmac_f32_e32 v10, 0x3377d1cf, v0
	v_add_f32_e32 v9, v9, v10
	v_cmp_lt_f32_e64 vcc, |v0|, s68
	v_cndmask_b32_e32 v0, v0, v9, vcc
	v_sub_f32_e32 v0, v0, v7
	v_div_scale_f32 v7, s[4:5], v39, v39, v0
	v_rcp_f32_e32 v9, v7
	v_div_scale_f32 v10, vcc, v0, v39, v0
	v_fma_f32 v11, -v7, v9, 1.0
	v_fmac_f32_e32 v9, v11, v9
	v_mul_f32_e32 v11, v10, v9
	v_fma_f32 v17, -v7, v11, v10
	v_fmac_f32_e32 v11, v17, v9
	v_fma_f32 v7, -v7, v11, v10
	v_div_fmas_f32 v7, v7, v9, v11
	v_div_fixup_f32 v0, v7, v39, v0
	v_ceil_f32_e32 v0, v0
	v_mul_f32_e64 v7, |v0|, v40
	v_floor_f32_e32 v7, v7
	v_fma_f32 v9, v7, s69, |v0|
	v_cvt_u32_f32_e32 v9, v9
	v_cvt_u32_f32_e32 v7, v7
	v_ashrrev_i32_e32 v0, 31, v0
	v_xor_b32_e32 v9, v9, v0
	v_xor_b32_e32 v7, v7, v0
	v_sub_co_u32_e32 v10, vcc, v9, v0
	v_subb_co_u32_e32 v11, vcc, v7, v0, vcc
	global_store_dwordx2 v8, v[10:11], s[28:29]
.LBB15_35:                              ;   in Loop: Header=BB15_9 Depth=1
	s_or_b64 exec, exec, s[2:3]
	v_mov_b32_e32 v0, s59
	v_add_co_u32_e32 v10, vcc, s33, v14
	v_addc_co_u32_e32 v11, vcc, v15, v0, vcc
	v_cmp_gt_i64_e32 vcc, s[24:25], v[10:11]
	s_and_saveexec_b64 s[2:3], vcc
	s_cbranch_execz .LBB15_51
; %bb.36:                               ;   in Loop: Header=BB15_9 Depth=1
	s_and_b64 vcc, exec, s[0:1]
	s_cbranch_vccnz .LBB15_42
; %bb.37:                               ;   in Loop: Header=BB15_9 Depth=1
	s_andn2_b64 vcc, exec, s[42:43]
	s_cbranch_vccnz .LBB15_43
; %bb.38:                               ;   in Loop: Header=BB15_9 Depth=1
	s_mov_b32 s6, 0
	s_andn2_b64 vcc, exec, s[30:31]
	v_mov_b32_e32 v8, 0
	s_cbranch_vccnz .LBB15_44
; %bb.39:                               ;   in Loop: Header=BB15_9 Depth=1
	s_mov_b32 s70, 0
	v_mov_b32_e32 v8, 0
	s_mov_b64 s[54:55], s[34:35]
	s_mov_b64 s[56:57], s[44:45]
	v_mov_b32_e32 v0, v10
.LBB15_40:                              ;   Parent Loop BB15_9 Depth=1
                                        ; =>  This Inner Loop Header: Depth=2
	s_load_dwordx8 s[16:23], s[54:55], 0x4
	s_load_dwordx4 s[4:7], s[54:55], 0x24
	s_load_dwordx4 s[36:39], s[56:57], 0x0
	s_add_u32 s54, s54, 48
	s_addc_u32 s55, s55, 0
	s_waitcnt lgkmcnt(0)
	v_mul_hi_u32 v7, s17, v0
	v_add_u32_e32 v7, v0, v7
	v_lshrrev_b32_e32 v7, s18, v7
	v_mul_lo_u32 v9, v7, s16
	v_mul_hi_u32 v11, s20, v7
	v_sub_u32_e32 v0, v0, v9
	v_add_u32_e32 v9, v7, v11
	v_lshrrev_b32_e32 v9, s21, v9
	v_mul_lo_u32 v11, v9, s19
	v_mul_hi_u32 v17, s23, v9
	v_sub_u32_e32 v7, v7, v11
	v_add_u32_e32 v11, v9, v17
	v_mul_lo_u32 v0, v0, s36
	v_mul_lo_u32 v7, v7, s37
	v_lshrrev_b32_e32 v11, s4, v11
	v_add3_u32 v7, v0, v8, v7
	v_mul_lo_u32 v0, v11, s22
	v_mul_hi_u32 v8, s6, v11
	v_sub_u32_e32 v0, v9, v0
	v_add_u32_e32 v8, v11, v8
	v_mul_lo_u32 v9, v0, s38
	v_lshrrev_b32_e32 v0, s7, v8
	s_add_i32 s70, s70, 4
	v_mul_lo_u32 v8, v0, s5
	s_add_u32 s56, s56, 16
	v_sub_u32_e32 v8, v11, v8
	s_addc_u32 s57, s57, 0
	v_mul_lo_u32 v8, v8, s39
	s_cmp_eq_u32 s65, s70
	v_add3_u32 v8, v9, v7, v8
	s_cbranch_scc0 .LBB15_40
; %bb.41:                               ;   in Loop: Header=BB15_9 Depth=1
	s_mov_b32 s6, s65
	s_andn2_b64 vcc, exec, s[52:53]
	s_cbranch_vccz .LBB15_45
	s_branch .LBB15_47
.LBB15_42:                              ;   in Loop: Header=BB15_9 Depth=1
                                        ; implicit-def: $vgpr8
	s_branch .LBB15_48
.LBB15_43:                              ;   in Loop: Header=BB15_9 Depth=1
	v_mov_b32_e32 v8, 0
	s_branch .LBB15_47
.LBB15_44:                              ;   in Loop: Header=BB15_9 Depth=1
	v_mov_b32_e32 v0, v10
	s_andn2_b64 vcc, exec, s[52:53]
	s_cbranch_vccnz .LBB15_47
.LBB15_45:                              ;   in Loop: Header=BB15_9 Depth=1
	s_lshl_b32 s4, s6, 2
	s_add_u32 s4, s44, s4
	s_addc_u32 s5, s45, 0
	s_mul_i32 s6, s6, 12
	s_add_u32 s6, s34, s6
	s_addc_u32 s7, s35, 0
	s_mov_b32 s16, s64
.LBB15_46:                              ;   Parent Loop BB15_9 Depth=1
                                        ; =>  This Inner Loop Header: Depth=2
	s_load_dwordx2 s[18:19], s[6:7], 0x4
	s_load_dword s17, s[6:7], 0xc
	s_load_dword s20, s[4:5], 0x0
	s_add_u32 s6, s6, 12
	s_addc_u32 s7, s7, 0
	s_waitcnt lgkmcnt(0)
	v_mul_hi_u32 v7, s19, v0
	v_add_u32_e32 v7, v0, v7
	v_lshrrev_b32_e32 v7, s17, v7
	s_add_u32 s4, s4, 4
	v_mul_lo_u32 v9, v7, s18
	s_addc_u32 s5, s5, 0
	s_add_i32 s16, s16, -1
	v_sub_u32_e32 v9, v0, v9
	s_cmp_lg_u32 s16, 0
	v_mov_b32_e32 v0, v7
	v_mad_u64_u32 v[8:9], s[18:19], v9, s20, v[8:9]
	s_cbranch_scc1 .LBB15_46
.LBB15_47:                              ;   in Loop: Header=BB15_9 Depth=1
	s_cbranch_execnz .LBB15_50
.LBB15_48:                              ;   in Loop: Header=BB15_9 Depth=1
	v_mul_hi_u32 v0, v10, s10
	v_add_u32_e32 v0, v0, v10
	v_lshrrev_b32_e32 v0, s11, v0
	v_mul_lo_u32 v7, v0, s9
	v_sub_u32_e32 v7, v10, v7
	s_andn2_b64 vcc, exec, s[48:49]
	v_mul_lo_u32 v8, v7, s46
	s_cbranch_vccnz .LBB15_50
; %bb.49:                               ;   in Loop: Header=BB15_9 Depth=1
	v_mul_hi_u32 v7, s8, v0
	v_add_u32_e32 v7, v0, v7
	v_lshrrev_b32_e32 v7, s14, v7
	v_mul_lo_u32 v7, v7, s12
	v_sub_u32_e32 v0, v0, v7
	v_mad_u64_u32 v[8:9], s[4:5], v0, s47, v[8:9]
.LBB15_50:                              ;   in Loop: Header=BB15_9 Depth=1
	v_cvt_f32_u32_e32 v0, v1
	v_mov_b32_e32 v1, 0x2f800000
	v_fmac_f32_e32 v1, 0x2f800000, v0
	v_cmp_gt_f32_e32 vcc, s66, v1
	v_cndmask_b32_e32 v0, 1.0, v41, vcc
	v_mul_f32_e32 v0, v1, v0
	v_log_f32_e32 v0, v0
	v_cndmask_b32_e32 v1, 0, v42, vcc
	v_mul_f32_e32 v7, 0x3f317217, v0
	v_fma_f32 v9, v0, s67, -v7
	v_fmac_f32_e32 v9, 0x3377d1cf, v0
	v_add_f32_e32 v7, v7, v9
	v_cmp_lt_f32_e64 vcc, |v0|, s68
	v_cndmask_b32_e32 v0, v0, v7, vcc
	v_sub_f32_e32 v0, v0, v1
	v_div_scale_f32 v1, s[4:5], v39, v39, v0
	v_rcp_f32_e32 v7, v1
	v_div_scale_f32 v9, vcc, v0, v39, v0
	v_fma_f32 v10, -v1, v7, 1.0
	v_fmac_f32_e32 v7, v10, v7
	v_mul_f32_e32 v10, v9, v7
	v_fma_f32 v11, -v1, v10, v9
	v_fmac_f32_e32 v10, v11, v7
	v_fma_f32 v1, -v1, v10, v9
	v_div_fmas_f32 v1, v1, v7, v10
	v_div_fixup_f32 v0, v1, v39, v0
	v_ceil_f32_e32 v0, v0
	v_mul_f32_e64 v1, |v0|, v40
	v_floor_f32_e32 v1, v1
	v_fma_f32 v7, v1, s69, |v0|
	v_cvt_u32_f32_e32 v7, v7
	v_cvt_u32_f32_e32 v1, v1
	v_ashrrev_i32_e32 v9, 31, v0
	v_xor_b32_e32 v0, v7, v9
	v_xor_b32_e32 v1, v1, v9
	v_sub_co_u32_e32 v0, vcc, v0, v9
	v_subb_co_u32_e32 v1, vcc, v1, v9, vcc
	global_store_dwordx2 v8, v[0:1], s[28:29]
.LBB15_51:                              ;   in Loop: Header=BB15_9 Depth=1
	s_or_b64 exec, exec, s[2:3]
	v_mov_b32_e32 v0, s15
	v_add_co_u32_e32 v8, vcc, s13, v14
	v_addc_co_u32_e32 v9, vcc, v15, v0, vcc
	v_cmp_gt_i64_e32 vcc, s[24:25], v[8:9]
	s_and_saveexec_b64 s[2:3], vcc
	s_cbranch_execz .LBB15_67
; %bb.52:                               ;   in Loop: Header=BB15_9 Depth=1
	s_and_b64 vcc, exec, s[0:1]
	s_cbranch_vccnz .LBB15_58
; %bb.53:                               ;   in Loop: Header=BB15_9 Depth=1
	s_andn2_b64 vcc, exec, s[42:43]
	s_cbranch_vccnz .LBB15_59
; %bb.54:                               ;   in Loop: Header=BB15_9 Depth=1
	s_mov_b32 s6, 0
	s_andn2_b64 vcc, exec, s[30:31]
	v_mov_b32_e32 v0, 0
	s_cbranch_vccnz .LBB15_60
; %bb.55:                               ;   in Loop: Header=BB15_9 Depth=1
	s_mov_b32 s70, 0
	v_mov_b32_e32 v0, 0
	s_mov_b64 s[54:55], s[34:35]
	s_mov_b64 s[56:57], s[44:45]
	v_mov_b32_e32 v7, v8
.LBB15_56:                              ;   Parent Loop BB15_9 Depth=1
                                        ; =>  This Inner Loop Header: Depth=2
	s_load_dwordx8 s[16:23], s[54:55], 0x4
	s_load_dwordx4 s[4:7], s[54:55], 0x24
	s_load_dwordx4 s[36:39], s[56:57], 0x0
	s_add_u32 s54, s54, 48
	s_addc_u32 s55, s55, 0
	s_waitcnt lgkmcnt(0)
	v_mul_hi_u32 v1, s17, v7
	v_add_u32_e32 v1, v7, v1
	v_lshrrev_b32_e32 v1, s18, v1
	v_mul_lo_u32 v9, v1, s16
	v_mul_hi_u32 v10, s20, v1
	v_sub_u32_e32 v7, v7, v9
	v_add_u32_e32 v9, v1, v10
	v_lshrrev_b32_e32 v9, s21, v9
	v_mul_lo_u32 v10, v9, s19
	v_mul_hi_u32 v11, s23, v9
	v_sub_u32_e32 v1, v1, v10
	v_add_u32_e32 v10, v9, v11
	v_mul_lo_u32 v7, v7, s36
	v_mul_lo_u32 v1, v1, s37
	v_lshrrev_b32_e32 v10, s4, v10
	v_add3_u32 v0, v7, v0, v1
	v_mul_hi_u32 v7, s6, v10
	v_add_u32_e32 v7, v10, v7
	v_mul_lo_u32 v1, v10, s22
	v_lshrrev_b32_e32 v7, s7, v7
	s_add_i32 s70, s70, 4
	v_sub_u32_e32 v1, v9, v1
	v_mul_lo_u32 v9, v7, s5
	s_add_u32 s56, s56, 16
	v_sub_u32_e32 v9, v10, v9
	s_addc_u32 s57, s57, 0
	v_mul_lo_u32 v1, v1, s38
	v_mul_lo_u32 v9, v9, s39
	s_cmp_eq_u32 s65, s70
	v_add3_u32 v0, v1, v0, v9
	s_cbranch_scc0 .LBB15_56
; %bb.57:                               ;   in Loop: Header=BB15_9 Depth=1
	s_mov_b32 s6, s65
	s_andn2_b64 vcc, exec, s[52:53]
	s_cbranch_vccz .LBB15_61
	s_branch .LBB15_63
.LBB15_58:                              ;   in Loop: Header=BB15_9 Depth=1
                                        ; implicit-def: $vgpr0
	s_branch .LBB15_64
.LBB15_59:                              ;   in Loop: Header=BB15_9 Depth=1
	v_mov_b32_e32 v0, 0
	s_branch .LBB15_63
.LBB15_60:                              ;   in Loop: Header=BB15_9 Depth=1
	v_mov_b32_e32 v7, v8
	s_andn2_b64 vcc, exec, s[52:53]
	s_cbranch_vccnz .LBB15_63
.LBB15_61:                              ;   in Loop: Header=BB15_9 Depth=1
	s_lshl_b32 s4, s6, 2
	s_add_u32 s4, s44, s4
	s_addc_u32 s5, s45, 0
	s_mul_i32 s6, s6, 12
	s_add_u32 s6, s34, s6
	s_addc_u32 s7, s35, 0
	s_mov_b32 s16, s64
.LBB15_62:                              ;   Parent Loop BB15_9 Depth=1
                                        ; =>  This Inner Loop Header: Depth=2
	s_load_dwordx2 s[18:19], s[6:7], 0x4
	s_load_dword s17, s[6:7], 0xc
	s_load_dword s20, s[4:5], 0x0
	s_add_u32 s6, s6, 12
	s_addc_u32 s7, s7, 0
	s_waitcnt lgkmcnt(0)
	v_mul_hi_u32 v1, s19, v7
	v_add_u32_e32 v1, v7, v1
	v_lshrrev_b32_e32 v1, s17, v1
	s_add_u32 s4, s4, 4
	v_mul_lo_u32 v9, v1, s18
	s_addc_u32 s5, s5, 0
	s_add_i32 s16, s16, -1
	v_sub_u32_e32 v9, v7, v9
	s_cmp_lg_u32 s16, 0
	v_mov_b32_e32 v7, v1
	v_mad_u64_u32 v[0:1], s[18:19], v9, s20, v[0:1]
	s_cbranch_scc1 .LBB15_62
.LBB15_63:                              ;   in Loop: Header=BB15_9 Depth=1
	s_cbranch_execnz .LBB15_66
.LBB15_64:                              ;   in Loop: Header=BB15_9 Depth=1
	v_mul_hi_u32 v0, v8, s10
	v_add_u32_e32 v0, v0, v8
	v_lshrrev_b32_e32 v1, s11, v0
	v_mul_lo_u32 v0, v1, s9
	v_sub_u32_e32 v0, v8, v0
	s_andn2_b64 vcc, exec, s[48:49]
	v_mul_lo_u32 v0, v0, s46
	s_cbranch_vccnz .LBB15_66
; %bb.65:                               ;   in Loop: Header=BB15_9 Depth=1
	v_mul_hi_u32 v7, s8, v1
	v_add_u32_e32 v7, v1, v7
	v_lshrrev_b32_e32 v7, s14, v7
	v_mul_lo_u32 v7, v7, s12
	v_sub_u32_e32 v1, v1, v7
	v_mad_u64_u32 v[0:1], s[4:5], v1, s47, v[0:1]
.LBB15_66:                              ;   in Loop: Header=BB15_9 Depth=1
	v_cvt_f32_u32_e32 v1, v2
	v_mov_b32_e32 v2, 0x2f800000
	v_fmac_f32_e32 v2, 0x2f800000, v1
	v_cmp_gt_f32_e32 vcc, s66, v2
	v_cndmask_b32_e32 v1, 1.0, v41, vcc
	v_mul_f32_e32 v1, v2, v1
	v_log_f32_e32 v1, v1
	v_cndmask_b32_e32 v2, 0, v42, vcc
	v_mul_f32_e32 v7, 0x3f317217, v1
	v_fma_f32 v8, v1, s67, -v7
	v_fmac_f32_e32 v8, 0x3377d1cf, v1
	v_add_f32_e32 v7, v7, v8
	v_cmp_lt_f32_e64 vcc, |v1|, s68
	v_cndmask_b32_e32 v1, v1, v7, vcc
	v_sub_f32_e32 v1, v1, v2
	v_div_scale_f32 v2, s[4:5], v39, v39, v1
	v_rcp_f32_e32 v7, v2
	v_div_scale_f32 v8, vcc, v1, v39, v1
	v_fma_f32 v9, -v2, v7, 1.0
	v_fmac_f32_e32 v7, v9, v7
	v_mul_f32_e32 v9, v8, v7
	v_fma_f32 v10, -v2, v9, v8
	v_fmac_f32_e32 v9, v10, v7
	v_fma_f32 v2, -v2, v9, v8
	v_div_fmas_f32 v2, v2, v7, v9
	v_div_fixup_f32 v1, v2, v39, v1
	v_ceil_f32_e32 v1, v1
	v_mul_f32_e64 v2, |v1|, v40
	v_floor_f32_e32 v2, v2
	v_fma_f32 v7, v2, s69, |v1|
	v_cvt_u32_f32_e32 v7, v7
	v_cvt_u32_f32_e32 v2, v2
	v_ashrrev_i32_e32 v1, 31, v1
	v_xor_b32_e32 v7, v7, v1
	v_xor_b32_e32 v2, v2, v1
	v_sub_co_u32_e32 v8, vcc, v7, v1
	v_subb_co_u32_e32 v9, vcc, v2, v1, vcc
	global_store_dwordx2 v0, v[8:9], s[28:29]
.LBB15_67:                              ;   in Loop: Header=BB15_9 Depth=1
	s_or_b64 exec, exec, s[2:3]
	v_mov_b32_e32 v0, s63
	v_add_co_u32_e32 v8, vcc, s62, v14
	v_addc_co_u32_e32 v9, vcc, v15, v0, vcc
	v_cmp_gt_i64_e32 vcc, s[24:25], v[8:9]
	s_and_saveexec_b64 s[36:37], vcc
	s_cbranch_execz .LBB15_8
; %bb.68:                               ;   in Loop: Header=BB15_9 Depth=1
	s_and_b64 vcc, exec, s[0:1]
	s_cbranch_vccnz .LBB15_74
; %bb.69:                               ;   in Loop: Header=BB15_9 Depth=1
	s_andn2_b64 vcc, exec, s[42:43]
	s_cbranch_vccnz .LBB15_75
; %bb.70:                               ;   in Loop: Header=BB15_9 Depth=1
	s_mov_b32 s2, 0
	s_andn2_b64 vcc, exec, s[30:31]
	v_mov_b32_e32 v0, 0
	s_cbranch_vccnz .LBB15_76
; %bb.71:                               ;   in Loop: Header=BB15_9 Depth=1
	s_mov_b32 s56, 0
	v_mov_b32_e32 v0, 0
	s_mov_b64 s[38:39], s[34:35]
	s_mov_b64 s[54:55], s[44:45]
	v_mov_b32_e32 v2, v8
.LBB15_72:                              ;   Parent Loop BB15_9 Depth=1
                                        ; =>  This Inner Loop Header: Depth=2
	s_load_dwordx8 s[0:7], s[38:39], 0x4
	s_load_dwordx4 s[16:19], s[38:39], 0x24
	s_load_dwordx4 s[20:23], s[54:55], 0x0
	s_add_u32 s38, s38, 48
	s_addc_u32 s39, s39, 0
	s_waitcnt lgkmcnt(0)
	v_mul_hi_u32 v1, s1, v2
	v_add_u32_e32 v1, v2, v1
	v_lshrrev_b32_e32 v1, s2, v1
	v_mul_lo_u32 v7, v1, s0
	v_mul_hi_u32 v9, s4, v1
	v_sub_u32_e32 v2, v2, v7
	v_add_u32_e32 v7, v1, v9
	v_lshrrev_b32_e32 v7, s5, v7
	v_mul_lo_u32 v9, v7, s3
	v_mul_hi_u32 v10, s7, v7
	v_sub_u32_e32 v1, v1, v9
	v_add_u32_e32 v9, v7, v10
	v_mul_lo_u32 v2, v2, s20
	v_mul_lo_u32 v1, v1, s21
	v_lshrrev_b32_e32 v9, s16, v9
	v_add3_u32 v0, v2, v0, v1
	v_mul_hi_u32 v2, s18, v9
	v_add_u32_e32 v2, v9, v2
	v_mul_lo_u32 v1, v9, s6
	v_lshrrev_b32_e32 v2, s19, v2
	s_add_i32 s56, s56, 4
	v_sub_u32_e32 v1, v7, v1
	v_mul_lo_u32 v7, v2, s17
	s_add_u32 s54, s54, 16
	v_sub_u32_e32 v7, v9, v7
	s_addc_u32 s55, s55, 0
	v_mul_lo_u32 v1, v1, s22
	v_mul_lo_u32 v7, v7, s23
	s_cmp_eq_u32 s65, s56
	v_add3_u32 v0, v1, v0, v7
	s_cbranch_scc0 .LBB15_72
; %bb.73:                               ;   in Loop: Header=BB15_9 Depth=1
	s_mov_b32 s2, s65
	s_andn2_b64 vcc, exec, s[52:53]
	s_cbranch_vccz .LBB15_77
	s_branch .LBB15_79
.LBB15_74:                              ;   in Loop: Header=BB15_9 Depth=1
                                        ; implicit-def: $vgpr0
	s_branch .LBB15_80
.LBB15_75:                              ;   in Loop: Header=BB15_9 Depth=1
	v_mov_b32_e32 v0, 0
	s_branch .LBB15_79
.LBB15_76:                              ;   in Loop: Header=BB15_9 Depth=1
	v_mov_b32_e32 v2, v8
	s_andn2_b64 vcc, exec, s[52:53]
	s_cbranch_vccnz .LBB15_79
.LBB15_77:                              ;   in Loop: Header=BB15_9 Depth=1
	s_lshl_b32 s0, s2, 2
	s_add_u32 s0, s44, s0
	s_addc_u32 s1, s45, 0
	s_mul_i32 s2, s2, 12
	s_add_u32 s2, s34, s2
	s_addc_u32 s3, s35, 0
	s_mov_b32 s4, s64
.LBB15_78:                              ;   Parent Loop BB15_9 Depth=1
                                        ; =>  This Inner Loop Header: Depth=2
	s_load_dwordx2 s[6:7], s[2:3], 0x4
	s_load_dword s5, s[2:3], 0xc
	s_load_dword s16, s[0:1], 0x0
	s_add_u32 s2, s2, 12
	s_addc_u32 s3, s3, 0
	s_waitcnt lgkmcnt(0)
	v_mul_hi_u32 v1, s7, v2
	v_add_u32_e32 v1, v2, v1
	v_lshrrev_b32_e32 v1, s5, v1
	s_add_u32 s0, s0, 4
	v_mul_lo_u32 v7, v1, s6
	s_addc_u32 s1, s1, 0
	s_add_i32 s4, s4, -1
	v_sub_u32_e32 v7, v2, v7
	s_cmp_lg_u32 s4, 0
	v_mov_b32_e32 v2, v1
	v_mad_u64_u32 v[0:1], s[6:7], v7, s16, v[0:1]
	s_cbranch_scc1 .LBB15_78
.LBB15_79:                              ;   in Loop: Header=BB15_9 Depth=1
	s_cbranch_execnz .LBB15_7
.LBB15_80:                              ;   in Loop: Header=BB15_9 Depth=1
	v_mul_hi_u32 v0, v8, s10
	v_add_u32_e32 v0, v0, v8
	v_lshrrev_b32_e32 v1, s11, v0
	v_mul_lo_u32 v0, v1, s9
	v_sub_u32_e32 v0, v8, v0
	s_andn2_b64 vcc, exec, s[48:49]
	v_mul_lo_u32 v0, v0, s46
	s_cbranch_vccnz .LBB15_7
; %bb.81:                               ;   in Loop: Header=BB15_9 Depth=1
	v_mul_hi_u32 v2, s8, v1
	v_add_u32_e32 v2, v1, v2
	v_lshrrev_b32_e32 v2, s14, v2
	v_mul_lo_u32 v2, v2, s12
	v_sub_u32_e32 v1, v1, v2
	v_mad_u64_u32 v[0:1], s[0:1], v1, s47, v[0:1]
	s_branch .LBB15_7
.LBB15_82:
	s_endpgm
.LBB15_83:
                                        ; implicit-def: $sgpr2_sgpr3
	s_andn2_b64 vcc, exec, s[0:1]
	s_cbranch_vccz .LBB15_4
	s_branch .LBB15_5
	.section	.rodata,"a",@progbits
	.p2align	6, 0x0
	.amdhsa_kernel _ZN2at6native12_GLOBAL__N_143distribution_elementwise_grid_stride_kernelIfLi4EZNS0_9templates4cuda21uniform_and_transformIlfPNS_17CUDAGeneratorImplEZZZNS4_16geometric_kernelIS7_EEvRNS_18TensorIteratorBaseEdT_ENKUlvE_clEvENKUlvE2_clEvEUlfE_EEvSA_T1_T2_EUlP25hiprandStatePhilox4_32_10E0_ZNS1_27distribution_nullary_kernelIlf15HIP_vector_typeIfLj4EES7_SJ_SE_EEvSA_SG_RKT3_T4_EUlifE0_EEvlNS_15PhiloxCudaStateESF_SG_
		.amdhsa_group_segment_fixed_size 0
		.amdhsa_private_segment_fixed_size 0
		.amdhsa_kernarg_size 584
		.amdhsa_user_sgpr_count 6
		.amdhsa_user_sgpr_private_segment_buffer 1
		.amdhsa_user_sgpr_dispatch_ptr 0
		.amdhsa_user_sgpr_queue_ptr 0
		.amdhsa_user_sgpr_kernarg_segment_ptr 1
		.amdhsa_user_sgpr_dispatch_id 0
		.amdhsa_user_sgpr_flat_scratch_init 0
		.amdhsa_user_sgpr_kernarg_preload_length 0
		.amdhsa_user_sgpr_kernarg_preload_offset 0
		.amdhsa_user_sgpr_private_segment_size 0
		.amdhsa_uses_dynamic_stack 0
		.amdhsa_system_sgpr_private_segment_wavefront_offset 0
		.amdhsa_system_sgpr_workgroup_id_x 1
		.amdhsa_system_sgpr_workgroup_id_y 0
		.amdhsa_system_sgpr_workgroup_id_z 0
		.amdhsa_system_sgpr_workgroup_info 0
		.amdhsa_system_vgpr_workitem_id 0
		.amdhsa_next_free_vgpr 45
		.amdhsa_next_free_sgpr 71
		.amdhsa_accum_offset 48
		.amdhsa_reserve_vcc 1
		.amdhsa_reserve_flat_scratch 0
		.amdhsa_float_round_mode_32 0
		.amdhsa_float_round_mode_16_64 0
		.amdhsa_float_denorm_mode_32 3
		.amdhsa_float_denorm_mode_16_64 3
		.amdhsa_dx10_clamp 1
		.amdhsa_ieee_mode 1
		.amdhsa_fp16_overflow 0
		.amdhsa_tg_split 0
		.amdhsa_exception_fp_ieee_invalid_op 0
		.amdhsa_exception_fp_denorm_src 0
		.amdhsa_exception_fp_ieee_div_zero 0
		.amdhsa_exception_fp_ieee_overflow 0
		.amdhsa_exception_fp_ieee_underflow 0
		.amdhsa_exception_fp_ieee_inexact 0
		.amdhsa_exception_int_div_zero 0
	.end_amdhsa_kernel
	.section	.text._ZN2at6native12_GLOBAL__N_143distribution_elementwise_grid_stride_kernelIfLi4EZNS0_9templates4cuda21uniform_and_transformIlfPNS_17CUDAGeneratorImplEZZZNS4_16geometric_kernelIS7_EEvRNS_18TensorIteratorBaseEdT_ENKUlvE_clEvENKUlvE2_clEvEUlfE_EEvSA_T1_T2_EUlP25hiprandStatePhilox4_32_10E0_ZNS1_27distribution_nullary_kernelIlf15HIP_vector_typeIfLj4EES7_SJ_SE_EEvSA_SG_RKT3_T4_EUlifE0_EEvlNS_15PhiloxCudaStateESF_SG_,"axG",@progbits,_ZN2at6native12_GLOBAL__N_143distribution_elementwise_grid_stride_kernelIfLi4EZNS0_9templates4cuda21uniform_and_transformIlfPNS_17CUDAGeneratorImplEZZZNS4_16geometric_kernelIS7_EEvRNS_18TensorIteratorBaseEdT_ENKUlvE_clEvENKUlvE2_clEvEUlfE_EEvSA_T1_T2_EUlP25hiprandStatePhilox4_32_10E0_ZNS1_27distribution_nullary_kernelIlf15HIP_vector_typeIfLj4EES7_SJ_SE_EEvSA_SG_RKT3_T4_EUlifE0_EEvlNS_15PhiloxCudaStateESF_SG_,comdat
.Lfunc_end15:
	.size	_ZN2at6native12_GLOBAL__N_143distribution_elementwise_grid_stride_kernelIfLi4EZNS0_9templates4cuda21uniform_and_transformIlfPNS_17CUDAGeneratorImplEZZZNS4_16geometric_kernelIS7_EEvRNS_18TensorIteratorBaseEdT_ENKUlvE_clEvENKUlvE2_clEvEUlfE_EEvSA_T1_T2_EUlP25hiprandStatePhilox4_32_10E0_ZNS1_27distribution_nullary_kernelIlf15HIP_vector_typeIfLj4EES7_SJ_SE_EEvSA_SG_RKT3_T4_EUlifE0_EEvlNS_15PhiloxCudaStateESF_SG_, .Lfunc_end15-_ZN2at6native12_GLOBAL__N_143distribution_elementwise_grid_stride_kernelIfLi4EZNS0_9templates4cuda21uniform_and_transformIlfPNS_17CUDAGeneratorImplEZZZNS4_16geometric_kernelIS7_EEvRNS_18TensorIteratorBaseEdT_ENKUlvE_clEvENKUlvE2_clEvEUlfE_EEvSA_T1_T2_EUlP25hiprandStatePhilox4_32_10E0_ZNS1_27distribution_nullary_kernelIlf15HIP_vector_typeIfLj4EES7_SJ_SE_EEvSA_SG_RKT3_T4_EUlifE0_EEvlNS_15PhiloxCudaStateESF_SG_
                                        ; -- End function
	.section	.AMDGPU.csdata,"",@progbits
; Kernel info:
; codeLenInByte = 5760
; NumSgprs: 75
; NumVgprs: 45
; NumAgprs: 0
; TotalNumVgprs: 45
; ScratchSize: 0
; MemoryBound: 0
; FloatMode: 240
; IeeeMode: 1
; LDSByteSize: 0 bytes/workgroup (compile time only)
; SGPRBlocks: 9
; VGPRBlocks: 5
; NumSGPRsForWavesPerEU: 75
; NumVGPRsForWavesPerEU: 45
; AccumOffset: 48
; Occupancy: 8
; WaveLimiterHint : 1
; COMPUTE_PGM_RSRC2:SCRATCH_EN: 0
; COMPUTE_PGM_RSRC2:USER_SGPR: 6
; COMPUTE_PGM_RSRC2:TRAP_HANDLER: 0
; COMPUTE_PGM_RSRC2:TGID_X_EN: 1
; COMPUTE_PGM_RSRC2:TGID_Y_EN: 0
; COMPUTE_PGM_RSRC2:TGID_Z_EN: 0
; COMPUTE_PGM_RSRC2:TIDIG_COMP_CNT: 0
; COMPUTE_PGM_RSRC3_GFX90A:ACCUM_OFFSET: 11
; COMPUTE_PGM_RSRC3_GFX90A:TG_SPLIT: 0
	.section	.text._ZN2at6native12_GLOBAL__N_143distribution_elementwise_grid_stride_kernelIfLi4EZNS0_9templates4cuda21uniform_and_transformIsfPNS_17CUDAGeneratorImplEZZZNS4_16geometric_kernelIS7_EEvRNS_18TensorIteratorBaseEdT_ENKUlvE_clEvENKUlvE3_clEvEUlfE_EEvSA_T1_T2_EUlP25hiprandStatePhilox4_32_10E_ZNS1_27distribution_nullary_kernelIsf15HIP_vector_typeIdLj2EES7_SJ_SE_EEvSA_SG_RKT3_T4_EUlifE_EEvlNS_15PhiloxCudaStateESF_SG_,"axG",@progbits,_ZN2at6native12_GLOBAL__N_143distribution_elementwise_grid_stride_kernelIfLi4EZNS0_9templates4cuda21uniform_and_transformIsfPNS_17CUDAGeneratorImplEZZZNS4_16geometric_kernelIS7_EEvRNS_18TensorIteratorBaseEdT_ENKUlvE_clEvENKUlvE3_clEvEUlfE_EEvSA_T1_T2_EUlP25hiprandStatePhilox4_32_10E_ZNS1_27distribution_nullary_kernelIsf15HIP_vector_typeIdLj2EES7_SJ_SE_EEvSA_SG_RKT3_T4_EUlifE_EEvlNS_15PhiloxCudaStateESF_SG_,comdat
	.globl	_ZN2at6native12_GLOBAL__N_143distribution_elementwise_grid_stride_kernelIfLi4EZNS0_9templates4cuda21uniform_and_transformIsfPNS_17CUDAGeneratorImplEZZZNS4_16geometric_kernelIS7_EEvRNS_18TensorIteratorBaseEdT_ENKUlvE_clEvENKUlvE3_clEvEUlfE_EEvSA_T1_T2_EUlP25hiprandStatePhilox4_32_10E_ZNS1_27distribution_nullary_kernelIsf15HIP_vector_typeIdLj2EES7_SJ_SE_EEvSA_SG_RKT3_T4_EUlifE_EEvlNS_15PhiloxCudaStateESF_SG_ ; -- Begin function _ZN2at6native12_GLOBAL__N_143distribution_elementwise_grid_stride_kernelIfLi4EZNS0_9templates4cuda21uniform_and_transformIsfPNS_17CUDAGeneratorImplEZZZNS4_16geometric_kernelIS7_EEvRNS_18TensorIteratorBaseEdT_ENKUlvE_clEvENKUlvE3_clEvEUlfE_EEvSA_T1_T2_EUlP25hiprandStatePhilox4_32_10E_ZNS1_27distribution_nullary_kernelIsf15HIP_vector_typeIdLj2EES7_SJ_SE_EEvSA_SG_RKT3_T4_EUlifE_EEvlNS_15PhiloxCudaStateESF_SG_
	.p2align	8
	.type	_ZN2at6native12_GLOBAL__N_143distribution_elementwise_grid_stride_kernelIfLi4EZNS0_9templates4cuda21uniform_and_transformIsfPNS_17CUDAGeneratorImplEZZZNS4_16geometric_kernelIS7_EEvRNS_18TensorIteratorBaseEdT_ENKUlvE_clEvENKUlvE3_clEvEUlfE_EEvSA_T1_T2_EUlP25hiprandStatePhilox4_32_10E_ZNS1_27distribution_nullary_kernelIsf15HIP_vector_typeIdLj2EES7_SJ_SE_EEvSA_SG_RKT3_T4_EUlifE_EEvlNS_15PhiloxCudaStateESF_SG_,@function
_ZN2at6native12_GLOBAL__N_143distribution_elementwise_grid_stride_kernelIfLi4EZNS0_9templates4cuda21uniform_and_transformIsfPNS_17CUDAGeneratorImplEZZZNS4_16geometric_kernelIS7_EEvRNS_18TensorIteratorBaseEdT_ENKUlvE_clEvENKUlvE3_clEvEUlfE_EEvSA_T1_T2_EUlP25hiprandStatePhilox4_32_10E_ZNS1_27distribution_nullary_kernelIsf15HIP_vector_typeIdLj2EES7_SJ_SE_EEvSA_SG_RKT3_T4_EUlifE_EEvlNS_15PhiloxCudaStateESF_SG_: ; @_ZN2at6native12_GLOBAL__N_143distribution_elementwise_grid_stride_kernelIfLi4EZNS0_9templates4cuda21uniform_and_transformIsfPNS_17CUDAGeneratorImplEZZZNS4_16geometric_kernelIS7_EEvRNS_18TensorIteratorBaseEdT_ENKUlvE_clEvENKUlvE3_clEvEUlfE_EEvSA_T1_T2_EUlP25hiprandStatePhilox4_32_10E_ZNS1_27distribution_nullary_kernelIsf15HIP_vector_typeIdLj2EES7_SJ_SE_EEvSA_SG_RKT3_T4_EUlifE_EEvlNS_15PhiloxCudaStateESF_SG_
; %bb.0:
	s_load_dword s2, s[4:5], 0x20
	s_load_dwordx2 s[0:1], s[4:5], 0x10
	s_load_dwordx4 s[8:11], s[4:5], 0x0
	s_waitcnt lgkmcnt(0)
	s_bitcmp0_b32 s2, 0
	s_mov_b32 s2, 0
	v_pk_mov_b32 v[2:3], s[0:1], s[0:1] op_sel:[0,1]
	v_pk_mov_b32 v[14:15], s[10:11], s[10:11] op_sel:[0,1]
	s_cbranch_scc1 .LBB16_2
; %bb.1:
	v_pk_mov_b32 v[2:3], s[0:1], s[0:1] op_sel:[0,1]
	flat_load_dwordx2 v[2:3], v[2:3]
	v_pk_mov_b32 v[4:5], s[10:11], s[10:11] op_sel:[0,1]
	flat_load_dwordx2 v[14:15], v[4:5]
	s_load_dwordx2 s[0:1], s[4:5], 0x18
	s_waitcnt lgkmcnt(0)
	v_mov_b32_e32 v1, s1
	s_waitcnt vmcnt(0)
	v_add_co_u32_e32 v2, vcc, s0, v2
	v_addc_co_u32_e32 v3, vcc, v3, v1, vcc
.LBB16_2:
	s_load_dword s0, s[4:5], 0x54
	s_load_dword s17, s[4:5], 0x48
	s_waitcnt lgkmcnt(0)
	s_and_b32 s7, s0, 0xffff
	s_add_u32 s10, s8, -1
	s_mul_i32 s12, s17, s7
	s_addc_u32 s3, s9, -1
	s_lshl_b32 s13, s12, 2
	s_cmp_lg_u64 s[2:3], 0
	s_mov_b64 s[0:1], -1
	s_cbranch_scc0 .LBB16_27
; %bb.3:
	v_cvt_f32_u32_e32 v1, s13
	v_cvt_f32_ubyte0_e32 v4, 0
	s_sub_u32 s2, 0, s13
	s_subb_u32 s11, 0, 0
	v_madmk_f32 v1, v4, 0x4f800000, v1
	v_rcp_f32_e32 v1, v1
	v_mul_f32_e32 v1, 0x5f7ffffc, v1
	v_mul_f32_e32 v4, 0x2f800000, v1
	v_trunc_f32_e32 v4, v4
	v_madmk_f32 v1, v4, 0xcf800000, v1
	v_cvt_u32_f32_e32 v4, v4
	v_cvt_u32_f32_e32 v1, v1
	v_readfirstlane_b32 s14, v4
	v_readfirstlane_b32 s15, v1
	s_mul_i32 s16, s2, s14
	s_mul_hi_u32 s19, s2, s15
	s_mul_i32 s18, s11, s15
	s_add_i32 s16, s19, s16
	s_add_i32 s16, s16, s18
	s_mul_i32 s20, s2, s15
	s_mul_hi_u32 s18, s15, s16
	s_mul_i32 s19, s15, s16
	s_mul_hi_u32 s15, s15, s20
	s_add_u32 s15, s15, s19
	s_addc_u32 s18, 0, s18
	s_mul_hi_u32 s21, s14, s20
	s_mul_i32 s20, s14, s20
	s_add_u32 s15, s15, s20
	s_mul_hi_u32 s19, s14, s16
	s_addc_u32 s15, s18, s21
	s_addc_u32 s18, s19, 0
	s_mul_i32 s16, s14, s16
	s_add_u32 s15, s15, s16
	s_addc_u32 s16, 0, s18
	v_add_co_u32_e32 v1, vcc, s15, v1
	s_cmp_lg_u64 vcc, 0
	s_addc_u32 s14, s14, s16
	v_readfirstlane_b32 s16, v1
	s_mul_i32 s15, s2, s14
	s_mul_hi_u32 s18, s2, s16
	s_add_i32 s15, s18, s15
	s_mul_i32 s11, s11, s16
	s_add_i32 s15, s15, s11
	s_mul_i32 s2, s2, s16
	s_mul_hi_u32 s18, s14, s2
	s_mul_i32 s19, s14, s2
	s_mul_i32 s21, s16, s15
	s_mul_hi_u32 s2, s16, s2
	s_mul_hi_u32 s20, s16, s15
	s_add_u32 s2, s2, s21
	s_addc_u32 s16, 0, s20
	s_add_u32 s2, s2, s19
	s_mul_hi_u32 s11, s14, s15
	s_addc_u32 s2, s16, s18
	s_addc_u32 s11, s11, 0
	s_mul_i32 s15, s14, s15
	s_add_u32 s2, s2, s15
	s_addc_u32 s11, 0, s11
	v_add_co_u32_e32 v1, vcc, s2, v1
	s_cmp_lg_u64 vcc, 0
	s_addc_u32 s11, s14, s11
	s_ashr_i32 s14, s3, 31
	s_add_u32 s2, s10, s14
	s_mov_b32 s15, s14
	s_addc_u32 s3, s3, s14
	s_xor_b64 s[2:3], s[2:3], s[14:15]
	v_readfirstlane_b32 s19, v1
	s_mul_i32 s18, s2, s11
	s_mul_hi_u32 s20, s2, s19
	s_mul_hi_u32 s16, s2, s11
	s_add_u32 s18, s20, s18
	s_addc_u32 s16, 0, s16
	s_mul_hi_u32 s21, s3, s19
	s_mul_i32 s19, s3, s19
	s_add_u32 s18, s18, s19
	s_mul_hi_u32 s20, s3, s11
	s_addc_u32 s16, s16, s21
	s_addc_u32 s18, s20, 0
	s_mul_i32 s11, s3, s11
	s_add_u32 s11, s16, s11
	s_addc_u32 s16, 0, s18
	s_add_u32 s18, s11, 1
	s_addc_u32 s19, s16, 0
	s_add_u32 s20, s11, 2
	s_mul_i32 s22, s13, s16
	s_mul_hi_u32 s23, s13, s11
	s_addc_u32 s21, s16, 0
	s_add_i32 s23, s23, s22
	s_mul_i32 s22, s13, s11
	v_mov_b32_e32 v1, s22
	v_sub_co_u32_e32 v1, vcc, s2, v1
	s_cmp_lg_u64 vcc, 0
	s_subb_u32 s2, s3, s23
	v_subrev_co_u32_e32 v4, vcc, s13, v1
	s_cmp_lg_u64 vcc, 0
	s_subb_u32 s3, s2, 0
	v_readfirstlane_b32 s22, v4
	s_cmp_ge_u32 s22, s13
	s_cselect_b32 s22, -1, 0
	s_cmp_eq_u32 s3, 0
	s_cselect_b32 s3, s22, -1
	s_cmp_lg_u32 s3, 0
	s_cselect_b32 s3, s21, s19
	v_readfirstlane_b32 s19, v1
	s_cselect_b32 s18, s20, s18
	s_cmp_ge_u32 s19, s13
	s_cselect_b32 s19, -1, 0
	s_cmp_eq_u32 s2, 0
	s_cselect_b32 s2, s19, -1
	s_cmp_lg_u32 s2, 0
	s_cselect_b32 s3, s3, s16
	s_cselect_b32 s2, s18, s11
	s_xor_b64 s[2:3], s[2:3], s[14:15]
	s_sub_u32 s2, s2, s14
	s_subb_u32 s3, s3, s14
	s_cbranch_execnz .LBB16_5
.LBB16_4:
	v_cvt_f32_u32_e32 v1, s13
	s_sub_i32 s0, 0, s13
	s_mov_b32 s3, 0
	v_rcp_iflag_f32_e32 v1, v1
	v_mul_f32_e32 v1, 0x4f7ffffe, v1
	v_cvt_u32_f32_e32 v1, v1
	v_readfirstlane_b32 s1, v1
	s_mul_i32 s0, s0, s1
	s_mul_hi_u32 s0, s1, s0
	s_add_i32 s1, s1, s0
	s_mul_hi_u32 s0, s10, s1
	s_mul_i32 s2, s0, s13
	s_sub_i32 s2, s10, s2
	s_add_i32 s1, s0, 1
	s_sub_i32 s10, s2, s13
	s_cmp_ge_u32 s2, s13
	s_cselect_b32 s0, s1, s0
	s_cselect_b32 s2, s10, s2
	s_add_i32 s1, s0, 1
	s_cmp_ge_u32 s2, s13
	s_cselect_b32 s2, s1, s0
.LBB16_5:
	v_mov_b32_e32 v1, 0
	v_mov_b32_e32 v4, s6
	v_mad_u64_u32 v[16:17], s[0:1], s7, v4, v[0:1]
	s_add_u32 s0, s2, 1
	s_addc_u32 s1, s3, 0
	s_mul_hi_u32 s2, s17, s7
	s_mul_i32 s1, s12, s1
	s_mul_hi_u32 s3, s12, s0
	s_add_i32 s1, s3, s1
	s_mul_i32 s2, s2, s0
	s_add_i32 s1, s1, s2
	s_mul_i32 s0, s12, s0
	s_lshl_b64 s[2:3], s[0:1], 2
	v_cmp_gt_i64_e32 vcc, s[2:3], v[16:17]
	s_and_saveexec_b64 s[0:1], vcc
	s_cbranch_execz .LBB16_26
; %bb.6:
	s_load_dwordx2 s[10:11], s[4:5], 0x30
	s_load_dword s25, s[4:5], 0x38
	s_load_dwordx2 s[0:1], s[4:5], 0x40
	s_mov_b32 s4, 0x5384540f
	v_mov_b32_e32 v4, v15
	v_add_co_u32_e32 v22, vcc, s4, v14
	s_mov_b32 s4, 0x646e171e
	v_add_co_u32_e32 v23, vcc, s4, v4
	s_mov_b32 s4, 0x1715609d
	;; [unrolled: 2-line block ×6, first 2 shown]
	v_alignbit_b32 v29, v3, v2, 2
	s_mov_b32 s15, 0xd2511f53
	v_add_co_u32_e32 v28, vcc, s4, v14
	v_mad_u64_u32 v[6:7], s[4:5], v29, s15, 0
	v_xor_b32_e32 v1, v7, v15
	v_xor_b32_e32 v1, v1, v17
	s_mov_b32 s16, 0xcd9e8d57
	v_mad_u64_u32 v[8:9], s[4:5], v1, s16, 0
	v_xor_b32_e32 v1, v28, v9
	v_mad_u64_u32 v[10:11], s[4:5], v16, s16, 0
	v_and_b32_e32 v18, 3, v2
	v_xor_b32_e32 v1, v1, v10
	v_xor_b32_e32 v2, v14, v11
	v_lshrrev_b32_e32 v30, 2, v3
	v_mad_u64_u32 v[12:13], s[4:5], v1, s15, 0
	v_xor_b32_e32 v2, v2, v30
	v_xor_b32_e32 v1, v27, v13
	v_mad_u64_u32 v[2:3], s[4:5], v2, s15, 0
	v_xor_b32_e32 v1, v1, v2
	v_mad_u64_u32 v[10:11], s[4:5], v1, s16, 0
	s_mov_b32 s4, 0xbb67ae85
	v_add_co_u32_e32 v31, vcc, s4, v4
	v_xor_b32_e32 v2, v31, v3
	v_xor_b32_e32 v2, v2, v6
	v_xor_b32_e32 v1, v26, v11
	v_mad_u64_u32 v[2:3], s[4:5], v2, s16, 0
	v_xor_b32_e32 v1, v1, v2
	v_mad_u64_u32 v[6:7], s[4:5], v1, s15, 0
	s_mov_b32 s4, 0x3c6ef372
	v_add_co_u32_e32 v32, vcc, s4, v14
	v_xor_b32_e32 v2, v32, v3
	;; [unrolled: 8-line block ×6, first 2 shown]
	v_add_co_u32_e32 v21, vcc, 0xdb3d7428, v4
	v_xor_b32_e32 v2, v2, v8
	v_xor_b32_e32 v1, v21, v41
	v_mad_u64_u32 v[2:3], s[4:5], v2, s15, 0
	v_xor_b32_e32 v1, v1, v2
	v_mad_u64_u32 v[8:9], s[4:5], v1, s16, 0
	s_mov_b32 s4, 0x1fd5c5a3
	v_add_co_u32_e32 v37, vcc, s4, v4
	v_xor_b32_e32 v1, v37, v3
	v_xor_b32_e32 v1, v1, v12
	v_mad_u64_u32 v[2:3], s[4:5], v1, s16, 0
	s_mov_b32 s4, 0xf1bbcdc8
	v_add_u32_e32 v19, 0x8ff34781, v14
	v_xor_b32_e32 v1, v9, v2
	v_add_co_u32_e32 v38, vcc, s4, v14
	v_xor_b32_e32 v2, v19, v1
	v_xor_b32_e32 v1, v38, v3
	;; [unrolled: 1-line block ×3, first 2 shown]
	v_mad_u64_u32 v[6:7], s[4:5], v1, s15, 0
	v_add_u32_e32 v20, 0x96a522ad, v15
	v_xor_b32_e32 v1, v7, v40
	v_xor_b32_e32 v4, v20, v1
	s_waitcnt lgkmcnt(0)
	v_cvt_f32_f64_e32 v1, s[0:1]
	v_sub_f32_e32 v5, 1.0, v1
	v_add_f32_e32 v7, -1.0, v5
	v_mov_b32_e32 v3, v8
	v_sub_f32_e32 v8, v7, v5
	v_add_f32_e32 v8, 1.0, v8
	v_sub_f32_e64 v7, -v1, v7
	v_add_f32_e32 v7, v7, v8
	v_frexp_mant_f32_e32 v10, v5
	s_mov_b32 s0, 0x3f2aaaab
	v_cvt_f64_f32_e32 v[8:9], v5
	v_frexp_exp_i32_f64_e32 v8, v[8:9]
	v_cmp_gt_f32_e32 vcc, s0, v10
	v_subbrev_co_u32_e32 v8, vcc, 0, v8, vcc
	v_sub_u32_e32 v9, 0, v8
	v_ldexp_f32 v5, v5, v9
	v_ldexp_f32 v7, v7, v9
	v_add_f32_e32 v9, -1.0, v5
	v_add_f32_e32 v12, 1.0, v5
	v_add_f32_e32 v10, 1.0, v9
	v_add_f32_e32 v13, -1.0, v12
	v_sub_f32_e32 v10, v5, v10
	v_sub_f32_e32 v5, v5, v13
	v_add_f32_e32 v5, v7, v5
	v_add_f32_e32 v10, v7, v10
	;; [unrolled: 1-line block ×3, first 2 shown]
	v_rcp_f32_e32 v13, v7
	v_add_f32_e32 v11, v9, v10
	v_sub_f32_e32 v9, v11, v9
	v_sub_f32_e32 v9, v10, v9
	;; [unrolled: 1-line block ×4, first 2 shown]
	v_mul_f32_e32 v10, v11, v13
	v_mul_f32_e32 v12, v7, v10
	v_fma_f32 v39, v10, v7, -v12
	v_fmac_f32_e32 v39, v10, v5
	v_add_f32_e32 v40, v12, v39
	v_sub_f32_e32 v41, v11, v40
	v_sub_f32_e32 v11, v11, v41
	;; [unrolled: 1-line block ×4, first 2 shown]
	v_add_f32_e32 v9, v9, v11
	v_sub_f32_e32 v11, v12, v39
	v_add_f32_e32 v9, v11, v9
	v_add_f32_e32 v11, v41, v9
	v_mul_f32_e32 v12, v13, v11
	v_mul_f32_e32 v39, v7, v12
	v_fma_f32 v7, v12, v7, -v39
	v_fmac_f32_e32 v7, v12, v5
	v_sub_f32_e32 v5, v41, v11
	v_add_f32_e32 v5, v9, v5
	v_add_f32_e32 v9, v39, v7
	v_sub_f32_e32 v40, v11, v9
	v_sub_f32_e32 v11, v11, v40
	;; [unrolled: 1-line block ×4, first 2 shown]
	v_add_f32_e32 v5, v5, v9
	v_sub_f32_e32 v7, v39, v7
	v_add_f32_e32 v5, v7, v5
	v_add_f32_e32 v7, v10, v12
	;; [unrolled: 1-line block ×3, first 2 shown]
	v_sub_f32_e32 v9, v7, v10
	v_mul_f32_e32 v5, v13, v5
	v_sub_f32_e32 v9, v12, v9
	v_add_f32_e32 v5, v9, v5
	v_cvt_f32_i32_e32 v8, v8
	v_add_f32_e32 v9, v7, v5
	v_mul_f32_e32 v10, v9, v9
	v_mov_b32_e32 v11, 0x3ecc95a3
	v_fmac_f32_e32 v11, 0x3e9b6dac, v10
	v_mov_b32_e32 v12, 0x3f2aaada
	v_fmac_f32_e32 v12, v10, v11
	s_mov_b32 s0, 0x3f317218
	v_mul_f32_e32 v11, 0x3f317218, v8
	v_fma_f32 v13, v8, s0, -v11
	v_fmac_f32_e32 v13, 0xb102e308, v8
	v_sub_f32_e32 v7, v9, v7
	v_sub_f32_e32 v5, v5, v7
	v_add_f32_e32 v7, v11, v13
	v_sub_f32_e32 v8, v7, v11
	v_ldexp_f32 v11, v9, 1
	v_mul_f32_e32 v9, v9, v10
	v_mul_f32_e32 v9, v9, v12
	v_add_f32_e32 v10, v11, v9
	v_sub_f32_e32 v11, v10, v11
	v_ldexp_f32 v5, v5, 1
	v_sub_f32_e32 v9, v9, v11
	v_add_f32_e32 v5, v5, v9
	v_add_f32_e32 v9, v10, v5
	v_sub_f32_e32 v10, v9, v10
	v_sub_f32_e32 v5, v5, v10
	v_add_f32_e32 v10, v7, v9
	v_sub_f32_e32 v11, v10, v7
	v_sub_f32_e32 v12, v10, v11
	v_sub_f32_e32 v8, v13, v8
	v_sub_f32_e32 v7, v7, v12
	v_sub_f32_e32 v9, v9, v11
	v_add_f32_e32 v7, v9, v7
	v_add_f32_e32 v9, v8, v5
	v_sub_f32_e32 v11, v9, v8
	v_sub_f32_e32 v12, v9, v11
	;; [unrolled: 1-line block ×4, first 2 shown]
	v_add_f32_e32 v7, v9, v7
	v_add_f32_e32 v5, v5, v8
	;; [unrolled: 1-line block ×3, first 2 shown]
	v_sub_f32_e32 v9, v8, v10
	v_sub_f32_e32 v7, v7, v9
	v_add_f32_e32 v5, v5, v7
	s_mov_b32 s0, 0xff800000
	v_add_f32_e32 v5, v8, v5
	v_cmp_eq_f32_e32 vcc, s0, v1
	v_cndmask_b32_e64 v5, v5, -v1, vcc
	v_mov_b32_e32 v7, 0x7fc00000
	v_cmp_nlt_f32_e32 vcc, 1.0, v1
	v_cndmask_b32_e32 v5, v7, v5, vcc
	v_mov_b32_e32 v7, 0xff800000
	v_cmp_neq_f32_e32 vcc, 1.0, v1
	s_mov_b32 s0, 0x33800000
	v_cndmask_b32_e32 v5, v7, v5, vcc
	v_log_f32_e32 v7, s0
	v_cmp_lt_f32_e64 s[0:1], |v1|, s0
	v_cndmask_b32_e64 v39, v5, -v1, s[0:1]
	s_mov_b32 s18, 0x3f317217
	v_mul_f32_e32 v1, 0x3f317217, v7
	v_fma_f32 v5, v7, s18, -v1
	v_fmac_f32_e32 v5, 0x3377d1cf, v7
	s_mov_b32 s19, 0x7f800000
	v_add_f32_e32 v1, v1, v5
	v_cmp_lt_f32_e64 vcc, |v7|, s19
	v_cndmask_b32_e32 v1, v7, v1, vcc
	v_div_scale_f32 v7, s[0:1], v39, v39, v1
	v_rcp_f32_e32 v8, v7
	v_mov_b32_e32 v5, v6
	s_mul_i32 s0, s6, s7
	s_mov_b32 s14, 0
	v_fma_f32 v6, -v7, v8, 1.0
	v_fmac_f32_e32 v8, v6, v8
	v_div_scale_f32 v6, vcc, v1, v39, v1
	v_mul_f32_e32 v9, v6, v8
	v_fma_f32 v10, -v7, v9, v6
	v_fmac_f32_e32 v9, v10, v8
	v_fma_f32 v6, -v7, v9, v6
	v_div_fmas_f32 v6, v6, v8, v9
	v_div_fixup_f32 v1, v6, v39, v1
	v_ceil_f32_e32 v1, v1
	v_cvt_i32_f32_e32 v40, v1
	v_add_u32_e32 v1, s0, v0
	s_mul_i32 s0, s17, s25
	s_mul_i32 s0, s0, s7
	s_lshl_b32 s24, s0, 2
	s_mul_i32 s0, s17, 3
	s_add_i32 s0, s6, s0
	s_mul_i32 s0, s0, s7
	v_mul_lo_u32 v41, s25, v1
	v_add_u32_e32 v1, s0, v0
	s_lshl_b32 s0, s17, 1
	s_add_i32 s0, s6, s0
	s_mul_i32 s0, s0, s7
	v_mul_lo_u32 v42, s25, v1
	v_add_u32_e32 v1, s0, v0
	s_add_i32 s0, s6, s17
	s_mul_i32 s0, s0, s7
	v_add_u32_e32 v0, s0, v0
	s_lshl_b32 s20, s12, 1
	s_mov_b32 s21, s14
	s_mul_i32 s22, s12, 3
	s_mov_b32 s23, s14
	v_mul_lo_u32 v43, s25, v1
	v_mul_lo_u32 v44, s25, v0
	s_mov_b64 s[4:5], 0
	s_mov_b32 s17, 0x800000
	v_mov_b32_e32 v45, 0x4f800000
	v_mov_b32_e32 v46, 0x41b17218
	s_mov_b32 s25, s14
	v_mov_b32_e32 v47, v16
	v_mov_b32_e32 v48, v17
	s_branch .LBB16_8
.LBB16_7:                               ;   in Loop: Header=BB16_8 Depth=1
	s_or_b64 exec, exec, s[0:1]
	v_add_co_u32_e32 v16, vcc, s13, v16
	v_addc_co_u32_e32 v17, vcc, 0, v17, vcc
	v_mov_b32_e32 v9, v0
	s_add_i32 s25, s25, s24
	v_cmp_le_i64_e32 vcc, s[2:3], v[16:17]
	v_pk_mov_b32 v[2:3], v[6:7], v[6:7] op_sel:[0,1]
	s_or_b64 s[4:5], vcc, s[4:5]
	v_pk_mov_b32 v[4:5], v[8:9], v[8:9] op_sel:[0,1]
	s_barrier
	s_andn2_b64 exec, exec, s[4:5]
	s_cbranch_execz .LBB16_26
.LBB16_8:                               ; =>This Inner Loop Header: Depth=1
	v_add_co_u32_e32 v29, vcc, 1, v29
	v_cndmask_b32_e64 v0, 0, 1, vcc
	v_addc_co_u32_e32 v30, vcc, 0, v30, vcc
	v_cmp_eq_u32_e32 vcc, 0, v30
	v_cndmask_b32_e32 v0, 0, v0, vcc
	v_add_u32_e32 v47, v0, v47
	v_cmp_eq_u32_e32 vcc, 0, v47
	v_cndmask_b32_e32 v0, 0, v0, vcc
	v_add_u32_e32 v48, v0, v48
	v_mad_u64_u32 v[0:1], s[0:1], v29, s15, 0
	v_mad_u64_u32 v[6:7], s[0:1], v47, s16, 0
	v_xor_b32_e32 v1, v1, v15
	v_xor_b32_e32 v7, v7, v14
	v_xor_b32_e32 v1, v48, v1
	v_xor_b32_e32 v7, v30, v7
	v_mad_u64_u32 v[10:11], s[0:1], v1, s16, 0
	v_mad_u64_u32 v[8:9], s[0:1], v7, s15, 0
	v_xor_b32_e32 v1, v28, v11
	v_xor_b32_e32 v1, v1, v6
	v_xor_b32_e32 v6, v31, v9
	v_xor_b32_e32 v6, v6, v0
	;; [unrolled: 6-line block ×10, first 2 shown]
	v_mov_b32_e32 v7, v12
	v_mov_b32_e32 v8, v13
	v_cmp_lt_i32_e32 vcc, 1, v18
	s_and_saveexec_b64 s[0:1], vcc
	s_xor_b64 s[0:1], exec, s[0:1]
	s_cbranch_execnz .LBB16_18
; %bb.9:                                ;   in Loop: Header=BB16_8 Depth=1
	s_andn2_saveexec_b64 s[0:1], s[0:1]
	s_cbranch_execnz .LBB16_23
.LBB16_10:                              ;   in Loop: Header=BB16_8 Depth=1
	s_or_b64 exec, exec, s[0:1]
	v_cmp_gt_i64_e32 vcc, s[8:9], v[16:17]
	s_and_saveexec_b64 s[6:7], vcc
	s_cbranch_execz .LBB16_12
.LBB16_11:                              ;   in Loop: Header=BB16_8 Depth=1
	v_lshrrev_b32_e32 v1, 11, v3
	v_cvt_f64_u32_e32 v[10:11], v1
	v_ldexp_f64 v[10:11], v[10:11], 32
	v_cvt_f64_u32_e32 v[2:3], v2
	v_add_f64 v[2:3], v[10:11], v[2:3]
	v_mov_b32_e32 v10, 0
	v_mov_b32_e32 v11, 0x3ca00000
	v_fmac_f64_e32 v[10:11], 0x3ca00000, v[2:3]
	v_cvt_f32_f64_e32 v1, v[10:11]
	v_cmp_gt_f32_e32 vcc, s17, v1
	v_cndmask_b32_e32 v2, 1.0, v45, vcc
	v_mul_f32_e32 v1, v1, v2
	v_log_f32_e32 v1, v1
	v_add_u32_e32 v9, s25, v41
	v_ashrrev_i32_e32 v10, 31, v9
	v_mov_b32_e32 v11, s11
	v_mul_f32_e32 v2, 0x3f317217, v1
	v_fma_f32 v3, v1, s18, -v2
	v_fmac_f32_e32 v3, 0x3377d1cf, v1
	v_add_f32_e32 v2, v2, v3
	v_cmp_lt_f32_e64 s[0:1], |v1|, s19
	v_cndmask_b32_e64 v1, v1, v2, s[0:1]
	v_cndmask_b32_e32 v2, 0, v46, vcc
	v_sub_f32_e32 v1, v1, v2
	v_div_scale_f32 v2, s[0:1], v39, v39, v1
	v_rcp_f32_e32 v3, v2
	v_fma_f32 v12, -v2, v3, 1.0
	v_fmac_f32_e32 v3, v12, v3
	v_div_scale_f32 v12, vcc, v1, v39, v1
	v_mul_f32_e32 v13, v12, v3
	v_fma_f32 v49, -v2, v13, v12
	v_fmac_f32_e32 v13, v49, v3
	v_fma_f32 v2, -v2, v13, v12
	v_div_fmas_f32 v2, v2, v3, v13
	v_div_fixup_f32 v1, v2, v39, v1
	v_ceil_f32_e32 v1, v1
	v_cvt_i32_f32_e32 v1, v1
	v_add_co_u32_e32 v2, vcc, s10, v9
	v_addc_co_u32_e32 v3, vcc, v11, v10, vcc
	global_store_short v[2:3], v1, off
.LBB16_12:                              ;   in Loop: Header=BB16_8 Depth=1
	s_or_b64 exec, exec, s[6:7]
	v_mov_b32_e32 v1, s14
	v_add_co_u32_e32 v2, vcc, s12, v16
	v_addc_co_u32_e32 v3, vcc, v1, v17, vcc
	v_cmp_gt_i64_e32 vcc, s[8:9], v[2:3]
	s_and_saveexec_b64 s[6:7], vcc
	s_cbranch_execz .LBB16_14
; %bb.13:                               ;   in Loop: Header=BB16_8 Depth=1
	v_lshrrev_b32_e32 v1, 11, v5
	v_cvt_f64_u32_e32 v[2:3], v1
	v_ldexp_f64 v[2:3], v[2:3], 32
	v_cvt_f64_u32_e32 v[4:5], v4
	v_add_f64 v[2:3], v[2:3], v[4:5]
	v_mov_b32_e32 v4, 0
	v_mov_b32_e32 v5, 0x3ca00000
	v_fmac_f64_e32 v[4:5], 0x3ca00000, v[2:3]
	v_cvt_f32_f64_e32 v1, v[4:5]
	v_cmp_gt_f32_e32 vcc, s17, v1
	v_cndmask_b32_e32 v2, 1.0, v45, vcc
	v_mul_f32_e32 v1, v1, v2
	v_log_f32_e32 v1, v1
	v_add_u32_e32 v4, s25, v44
	v_ashrrev_i32_e32 v5, 31, v4
	v_mov_b32_e32 v9, s11
	v_mul_f32_e32 v2, 0x3f317217, v1
	v_fma_f32 v3, v1, s18, -v2
	v_fmac_f32_e32 v3, 0x3377d1cf, v1
	v_add_f32_e32 v2, v2, v3
	v_cmp_lt_f32_e64 s[0:1], |v1|, s19
	v_cndmask_b32_e64 v1, v1, v2, s[0:1]
	v_cndmask_b32_e32 v2, 0, v46, vcc
	v_sub_f32_e32 v1, v1, v2
	v_div_scale_f32 v2, s[0:1], v39, v39, v1
	v_rcp_f32_e32 v3, v2
	v_fma_f32 v10, -v2, v3, 1.0
	v_fmac_f32_e32 v3, v10, v3
	v_div_scale_f32 v10, vcc, v1, v39, v1
	v_mul_f32_e32 v11, v10, v3
	v_fma_f32 v12, -v2, v11, v10
	v_fmac_f32_e32 v11, v12, v3
	v_fma_f32 v2, -v2, v11, v10
	v_div_fmas_f32 v2, v2, v3, v11
	v_div_fixup_f32 v1, v2, v39, v1
	v_ceil_f32_e32 v1, v1
	v_cvt_i32_f32_e32 v1, v1
	v_add_co_u32_e32 v2, vcc, s10, v4
	v_addc_co_u32_e32 v3, vcc, v9, v5, vcc
	global_store_short v[2:3], v1, off
.LBB16_14:                              ;   in Loop: Header=BB16_8 Depth=1
	s_or_b64 exec, exec, s[6:7]
	v_mov_b32_e32 v1, s21
	v_add_co_u32_e32 v2, vcc, s20, v16
	v_addc_co_u32_e32 v3, vcc, v1, v17, vcc
	v_cmp_gt_i64_e32 vcc, s[8:9], v[2:3]
	s_and_saveexec_b64 s[0:1], vcc
	s_cbranch_execz .LBB16_16
; %bb.15:                               ;   in Loop: Header=BB16_8 Depth=1
	v_add_u32_e32 v1, s25, v43
	v_ashrrev_i32_e32 v3, 31, v1
	v_mov_b32_e32 v4, s11
	v_add_co_u32_e32 v2, vcc, s10, v1
	v_addc_co_u32_e32 v3, vcc, v4, v3, vcc
	global_store_short v[2:3], v40, off
.LBB16_16:                              ;   in Loop: Header=BB16_8 Depth=1
	s_or_b64 exec, exec, s[0:1]
	v_mov_b32_e32 v1, s23
	v_add_co_u32_e32 v2, vcc, s22, v16
	v_addc_co_u32_e32 v3, vcc, v1, v17, vcc
	v_cmp_gt_i64_e32 vcc, s[8:9], v[2:3]
	s_and_saveexec_b64 s[0:1], vcc
	s_cbranch_execz .LBB16_7
; %bb.17:                               ;   in Loop: Header=BB16_8 Depth=1
	v_add_u32_e32 v1, s25, v42
	v_ashrrev_i32_e32 v3, 31, v1
	v_mov_b32_e32 v4, s11
	v_add_co_u32_e32 v2, vcc, s10, v1
	v_addc_co_u32_e32 v3, vcc, v4, v3, vcc
	global_store_short v[2:3], v40, off
	s_branch .LBB16_7
.LBB16_18:                              ;   in Loop: Header=BB16_8 Depth=1
	v_cmp_lt_i32_e32 vcc, 2, v18
	s_and_saveexec_b64 s[6:7], vcc
	s_xor_b64 s[6:7], exec, s[6:7]
; %bb.19:                               ;   in Loop: Header=BB16_8 Depth=1
	v_mov_b32_e32 v10, v5
	v_mov_b32_e32 v11, v6
	v_pk_mov_b32 v[2:3], v[10:11], v[10:11] op_sel:[0,1]
	v_pk_mov_b32 v[4:5], v[12:13], v[12:13] op_sel:[0,1]
                                        ; implicit-def: $vgpr12_vgpr13
; %bb.20:                               ;   in Loop: Header=BB16_8 Depth=1
	s_andn2_saveexec_b64 s[6:7], s[6:7]
; %bb.21:                               ;   in Loop: Header=BB16_8 Depth=1
	v_mov_b32_e32 v2, v4
	v_mov_b32_e32 v3, v5
	;; [unrolled: 1-line block ×4, first 2 shown]
; %bb.22:                               ;   in Loop: Header=BB16_8 Depth=1
	s_or_b64 exec, exec, s[6:7]
	s_andn2_saveexec_b64 s[0:1], s[0:1]
	s_cbranch_execz .LBB16_10
.LBB16_23:                              ;   in Loop: Header=BB16_8 Depth=1
	v_cmp_eq_u32_e32 vcc, 1, v18
	s_and_saveexec_b64 s[6:7], vcc
; %bb.24:                               ;   in Loop: Header=BB16_8 Depth=1
	v_mov_b32_e32 v2, v3
	v_mov_b32_e32 v3, v4
	;; [unrolled: 1-line block ×4, first 2 shown]
; %bb.25:                               ;   in Loop: Header=BB16_8 Depth=1
	s_or_b64 exec, exec, s[6:7]
	s_or_b64 exec, exec, s[0:1]
	v_cmp_gt_i64_e32 vcc, s[8:9], v[16:17]
	s_and_saveexec_b64 s[6:7], vcc
	s_cbranch_execnz .LBB16_11
	s_branch .LBB16_12
.LBB16_26:
	s_endpgm
.LBB16_27:
                                        ; implicit-def: $sgpr2_sgpr3
	s_andn2_b64 vcc, exec, s[0:1]
	s_cbranch_vccz .LBB16_4
	s_branch .LBB16_5
	.section	.rodata,"a",@progbits
	.p2align	6, 0x0
	.amdhsa_kernel _ZN2at6native12_GLOBAL__N_143distribution_elementwise_grid_stride_kernelIfLi4EZNS0_9templates4cuda21uniform_and_transformIsfPNS_17CUDAGeneratorImplEZZZNS4_16geometric_kernelIS7_EEvRNS_18TensorIteratorBaseEdT_ENKUlvE_clEvENKUlvE3_clEvEUlfE_EEvSA_T1_T2_EUlP25hiprandStatePhilox4_32_10E_ZNS1_27distribution_nullary_kernelIsf15HIP_vector_typeIdLj2EES7_SJ_SE_EEvSA_SG_RKT3_T4_EUlifE_EEvlNS_15PhiloxCudaStateESF_SG_
		.amdhsa_group_segment_fixed_size 0
		.amdhsa_private_segment_fixed_size 0
		.amdhsa_kernarg_size 328
		.amdhsa_user_sgpr_count 6
		.amdhsa_user_sgpr_private_segment_buffer 1
		.amdhsa_user_sgpr_dispatch_ptr 0
		.amdhsa_user_sgpr_queue_ptr 0
		.amdhsa_user_sgpr_kernarg_segment_ptr 1
		.amdhsa_user_sgpr_dispatch_id 0
		.amdhsa_user_sgpr_flat_scratch_init 0
		.amdhsa_user_sgpr_kernarg_preload_length 0
		.amdhsa_user_sgpr_kernarg_preload_offset 0
		.amdhsa_user_sgpr_private_segment_size 0
		.amdhsa_uses_dynamic_stack 0
		.amdhsa_system_sgpr_private_segment_wavefront_offset 0
		.amdhsa_system_sgpr_workgroup_id_x 1
		.amdhsa_system_sgpr_workgroup_id_y 0
		.amdhsa_system_sgpr_workgroup_id_z 0
		.amdhsa_system_sgpr_workgroup_info 0
		.amdhsa_system_vgpr_workitem_id 0
		.amdhsa_next_free_vgpr 52
		.amdhsa_next_free_sgpr 26
		.amdhsa_accum_offset 52
		.amdhsa_reserve_vcc 1
		.amdhsa_reserve_flat_scratch 0
		.amdhsa_float_round_mode_32 0
		.amdhsa_float_round_mode_16_64 0
		.amdhsa_float_denorm_mode_32 3
		.amdhsa_float_denorm_mode_16_64 3
		.amdhsa_dx10_clamp 1
		.amdhsa_ieee_mode 1
		.amdhsa_fp16_overflow 0
		.amdhsa_tg_split 0
		.amdhsa_exception_fp_ieee_invalid_op 0
		.amdhsa_exception_fp_denorm_src 0
		.amdhsa_exception_fp_ieee_div_zero 0
		.amdhsa_exception_fp_ieee_overflow 0
		.amdhsa_exception_fp_ieee_underflow 0
		.amdhsa_exception_fp_ieee_inexact 0
		.amdhsa_exception_int_div_zero 0
	.end_amdhsa_kernel
	.section	.text._ZN2at6native12_GLOBAL__N_143distribution_elementwise_grid_stride_kernelIfLi4EZNS0_9templates4cuda21uniform_and_transformIsfPNS_17CUDAGeneratorImplEZZZNS4_16geometric_kernelIS7_EEvRNS_18TensorIteratorBaseEdT_ENKUlvE_clEvENKUlvE3_clEvEUlfE_EEvSA_T1_T2_EUlP25hiprandStatePhilox4_32_10E_ZNS1_27distribution_nullary_kernelIsf15HIP_vector_typeIdLj2EES7_SJ_SE_EEvSA_SG_RKT3_T4_EUlifE_EEvlNS_15PhiloxCudaStateESF_SG_,"axG",@progbits,_ZN2at6native12_GLOBAL__N_143distribution_elementwise_grid_stride_kernelIfLi4EZNS0_9templates4cuda21uniform_and_transformIsfPNS_17CUDAGeneratorImplEZZZNS4_16geometric_kernelIS7_EEvRNS_18TensorIteratorBaseEdT_ENKUlvE_clEvENKUlvE3_clEvEUlfE_EEvSA_T1_T2_EUlP25hiprandStatePhilox4_32_10E_ZNS1_27distribution_nullary_kernelIsf15HIP_vector_typeIdLj2EES7_SJ_SE_EEvSA_SG_RKT3_T4_EUlifE_EEvlNS_15PhiloxCudaStateESF_SG_,comdat
.Lfunc_end16:
	.size	_ZN2at6native12_GLOBAL__N_143distribution_elementwise_grid_stride_kernelIfLi4EZNS0_9templates4cuda21uniform_and_transformIsfPNS_17CUDAGeneratorImplEZZZNS4_16geometric_kernelIS7_EEvRNS_18TensorIteratorBaseEdT_ENKUlvE_clEvENKUlvE3_clEvEUlfE_EEvSA_T1_T2_EUlP25hiprandStatePhilox4_32_10E_ZNS1_27distribution_nullary_kernelIsf15HIP_vector_typeIdLj2EES7_SJ_SE_EEvSA_SG_RKT3_T4_EUlifE_EEvlNS_15PhiloxCudaStateESF_SG_, .Lfunc_end16-_ZN2at6native12_GLOBAL__N_143distribution_elementwise_grid_stride_kernelIfLi4EZNS0_9templates4cuda21uniform_and_transformIsfPNS_17CUDAGeneratorImplEZZZNS4_16geometric_kernelIS7_EEvRNS_18TensorIteratorBaseEdT_ENKUlvE_clEvENKUlvE3_clEvEUlfE_EEvSA_T1_T2_EUlP25hiprandStatePhilox4_32_10E_ZNS1_27distribution_nullary_kernelIsf15HIP_vector_typeIdLj2EES7_SJ_SE_EEvSA_SG_RKT3_T4_EUlifE_EEvlNS_15PhiloxCudaStateESF_SG_
                                        ; -- End function
	.section	.AMDGPU.csdata,"",@progbits
; Kernel info:
; codeLenInByte = 3480
; NumSgprs: 30
; NumVgprs: 52
; NumAgprs: 0
; TotalNumVgprs: 52
; ScratchSize: 0
; MemoryBound: 0
; FloatMode: 240
; IeeeMode: 1
; LDSByteSize: 0 bytes/workgroup (compile time only)
; SGPRBlocks: 3
; VGPRBlocks: 6
; NumSGPRsForWavesPerEU: 30
; NumVGPRsForWavesPerEU: 52
; AccumOffset: 52
; Occupancy: 8
; WaveLimiterHint : 0
; COMPUTE_PGM_RSRC2:SCRATCH_EN: 0
; COMPUTE_PGM_RSRC2:USER_SGPR: 6
; COMPUTE_PGM_RSRC2:TRAP_HANDLER: 0
; COMPUTE_PGM_RSRC2:TGID_X_EN: 1
; COMPUTE_PGM_RSRC2:TGID_Y_EN: 0
; COMPUTE_PGM_RSRC2:TGID_Z_EN: 0
; COMPUTE_PGM_RSRC2:TIDIG_COMP_CNT: 0
; COMPUTE_PGM_RSRC3_GFX90A:ACCUM_OFFSET: 12
; COMPUTE_PGM_RSRC3_GFX90A:TG_SPLIT: 0
	.section	.text._ZN2at6native12_GLOBAL__N_143distribution_elementwise_grid_stride_kernelIfLi4EZNS0_9templates4cuda21uniform_and_transformIsfPNS_17CUDAGeneratorImplEZZZNS4_16geometric_kernelIS7_EEvRNS_18TensorIteratorBaseEdT_ENKUlvE_clEvENKUlvE3_clEvEUlfE_EEvSA_T1_T2_EUlP25hiprandStatePhilox4_32_10E_ZNS1_27distribution_nullary_kernelIsf15HIP_vector_typeIdLj2EES7_SJ_SE_EEvSA_SG_RKT3_T4_EUlifE0_EEvlNS_15PhiloxCudaStateESF_SG_,"axG",@progbits,_ZN2at6native12_GLOBAL__N_143distribution_elementwise_grid_stride_kernelIfLi4EZNS0_9templates4cuda21uniform_and_transformIsfPNS_17CUDAGeneratorImplEZZZNS4_16geometric_kernelIS7_EEvRNS_18TensorIteratorBaseEdT_ENKUlvE_clEvENKUlvE3_clEvEUlfE_EEvSA_T1_T2_EUlP25hiprandStatePhilox4_32_10E_ZNS1_27distribution_nullary_kernelIsf15HIP_vector_typeIdLj2EES7_SJ_SE_EEvSA_SG_RKT3_T4_EUlifE0_EEvlNS_15PhiloxCudaStateESF_SG_,comdat
	.globl	_ZN2at6native12_GLOBAL__N_143distribution_elementwise_grid_stride_kernelIfLi4EZNS0_9templates4cuda21uniform_and_transformIsfPNS_17CUDAGeneratorImplEZZZNS4_16geometric_kernelIS7_EEvRNS_18TensorIteratorBaseEdT_ENKUlvE_clEvENKUlvE3_clEvEUlfE_EEvSA_T1_T2_EUlP25hiprandStatePhilox4_32_10E_ZNS1_27distribution_nullary_kernelIsf15HIP_vector_typeIdLj2EES7_SJ_SE_EEvSA_SG_RKT3_T4_EUlifE0_EEvlNS_15PhiloxCudaStateESF_SG_ ; -- Begin function _ZN2at6native12_GLOBAL__N_143distribution_elementwise_grid_stride_kernelIfLi4EZNS0_9templates4cuda21uniform_and_transformIsfPNS_17CUDAGeneratorImplEZZZNS4_16geometric_kernelIS7_EEvRNS_18TensorIteratorBaseEdT_ENKUlvE_clEvENKUlvE3_clEvEUlfE_EEvSA_T1_T2_EUlP25hiprandStatePhilox4_32_10E_ZNS1_27distribution_nullary_kernelIsf15HIP_vector_typeIdLj2EES7_SJ_SE_EEvSA_SG_RKT3_T4_EUlifE0_EEvlNS_15PhiloxCudaStateESF_SG_
	.p2align	8
	.type	_ZN2at6native12_GLOBAL__N_143distribution_elementwise_grid_stride_kernelIfLi4EZNS0_9templates4cuda21uniform_and_transformIsfPNS_17CUDAGeneratorImplEZZZNS4_16geometric_kernelIS7_EEvRNS_18TensorIteratorBaseEdT_ENKUlvE_clEvENKUlvE3_clEvEUlfE_EEvSA_T1_T2_EUlP25hiprandStatePhilox4_32_10E_ZNS1_27distribution_nullary_kernelIsf15HIP_vector_typeIdLj2EES7_SJ_SE_EEvSA_SG_RKT3_T4_EUlifE0_EEvlNS_15PhiloxCudaStateESF_SG_,@function
_ZN2at6native12_GLOBAL__N_143distribution_elementwise_grid_stride_kernelIfLi4EZNS0_9templates4cuda21uniform_and_transformIsfPNS_17CUDAGeneratorImplEZZZNS4_16geometric_kernelIS7_EEvRNS_18TensorIteratorBaseEdT_ENKUlvE_clEvENKUlvE3_clEvEUlfE_EEvSA_T1_T2_EUlP25hiprandStatePhilox4_32_10E_ZNS1_27distribution_nullary_kernelIsf15HIP_vector_typeIdLj2EES7_SJ_SE_EEvSA_SG_RKT3_T4_EUlifE0_EEvlNS_15PhiloxCudaStateESF_SG_: ; @_ZN2at6native12_GLOBAL__N_143distribution_elementwise_grid_stride_kernelIfLi4EZNS0_9templates4cuda21uniform_and_transformIsfPNS_17CUDAGeneratorImplEZZZNS4_16geometric_kernelIS7_EEvRNS_18TensorIteratorBaseEdT_ENKUlvE_clEvENKUlvE3_clEvEUlfE_EEvSA_T1_T2_EUlP25hiprandStatePhilox4_32_10E_ZNS1_27distribution_nullary_kernelIsf15HIP_vector_typeIdLj2EES7_SJ_SE_EEvSA_SG_RKT3_T4_EUlifE0_EEvlNS_15PhiloxCudaStateESF_SG_
; %bb.0:
	s_load_dword s2, s[4:5], 0x20
	s_load_dwordx2 s[0:1], s[4:5], 0x10
	s_load_dwordx4 s[24:27], s[4:5], 0x0
	s_waitcnt lgkmcnt(0)
	s_bitcmp0_b32 s2, 0
	s_mov_b32 s2, 0
	v_pk_mov_b32 v[2:3], s[0:1], s[0:1] op_sel:[0,1]
	v_pk_mov_b32 v[10:11], s[26:27], s[26:27] op_sel:[0,1]
	s_cbranch_scc1 .LBB17_2
; %bb.1:
	v_pk_mov_b32 v[2:3], s[0:1], s[0:1] op_sel:[0,1]
	flat_load_dwordx2 v[2:3], v[2:3]
	v_pk_mov_b32 v[4:5], s[26:27], s[26:27] op_sel:[0,1]
	flat_load_dwordx2 v[10:11], v[4:5]
	s_load_dwordx2 s[0:1], s[4:5], 0x18
	s_waitcnt lgkmcnt(0)
	v_mov_b32_e32 v1, s1
	s_waitcnt vmcnt(0)
	v_add_co_u32_e32 v2, vcc, s0, v2
	v_addc_co_u32_e32 v3, vcc, v3, v1, vcc
.LBB17_2:
	s_load_dword s0, s[4:5], 0x154
	s_load_dword s7, s[4:5], 0x148
	s_waitcnt lgkmcnt(0)
	s_and_b32 s8, s0, 0xffff
	s_add_u32 s9, s24, -1
	s_mul_i32 s33, s7, s8
	s_addc_u32 s3, s25, -1
	s_lshl_b32 s58, s33, 2
	s_cmp_lg_u64 s[2:3], 0
	s_mov_b64 s[0:1], -1
	s_cbranch_scc0 .LBB17_83
; %bb.3:
	v_cvt_f32_u32_e32 v1, s58
	v_cvt_f32_ubyte0_e32 v4, 0
	s_sub_u32 s2, 0, s58
	s_subb_u32 s10, 0, 0
	v_madmk_f32 v1, v4, 0x4f800000, v1
	v_rcp_f32_e32 v1, v1
	v_mul_f32_e32 v1, 0x5f7ffffc, v1
	v_mul_f32_e32 v4, 0x2f800000, v1
	v_trunc_f32_e32 v4, v4
	v_madmk_f32 v1, v4, 0xcf800000, v1
	v_cvt_u32_f32_e32 v4, v4
	v_cvt_u32_f32_e32 v1, v1
	v_readfirstlane_b32 s11, v4
	v_readfirstlane_b32 s12, v1
	s_mul_i32 s13, s2, s11
	s_mul_hi_u32 s15, s2, s12
	s_mul_i32 s14, s10, s12
	s_add_i32 s13, s15, s13
	s_add_i32 s13, s13, s14
	s_mul_i32 s16, s2, s12
	s_mul_hi_u32 s14, s12, s13
	s_mul_i32 s15, s12, s13
	s_mul_hi_u32 s12, s12, s16
	s_add_u32 s12, s12, s15
	s_addc_u32 s14, 0, s14
	s_mul_hi_u32 s17, s11, s16
	s_mul_i32 s16, s11, s16
	s_add_u32 s12, s12, s16
	s_mul_hi_u32 s15, s11, s13
	s_addc_u32 s12, s14, s17
	s_addc_u32 s14, s15, 0
	s_mul_i32 s13, s11, s13
	s_add_u32 s12, s12, s13
	s_addc_u32 s13, 0, s14
	v_add_co_u32_e32 v1, vcc, s12, v1
	s_cmp_lg_u64 vcc, 0
	s_addc_u32 s11, s11, s13
	v_readfirstlane_b32 s13, v1
	s_mul_i32 s12, s2, s11
	s_mul_hi_u32 s14, s2, s13
	s_add_i32 s12, s14, s12
	s_mul_i32 s10, s10, s13
	s_add_i32 s12, s12, s10
	s_mul_i32 s2, s2, s13
	s_mul_hi_u32 s14, s11, s2
	s_mul_i32 s15, s11, s2
	s_mul_i32 s17, s13, s12
	s_mul_hi_u32 s2, s13, s2
	s_mul_hi_u32 s16, s13, s12
	s_add_u32 s2, s2, s17
	s_addc_u32 s13, 0, s16
	s_add_u32 s2, s2, s15
	s_mul_hi_u32 s10, s11, s12
	s_addc_u32 s2, s13, s14
	s_addc_u32 s10, s10, 0
	s_mul_i32 s12, s11, s12
	s_add_u32 s2, s2, s12
	s_addc_u32 s10, 0, s10
	v_add_co_u32_e32 v1, vcc, s2, v1
	s_cmp_lg_u64 vcc, 0
	s_addc_u32 s12, s11, s10
	s_ashr_i32 s10, s3, 31
	s_add_u32 s2, s9, s10
	s_mov_b32 s11, s10
	s_addc_u32 s3, s3, s10
	s_xor_b64 s[2:3], s[2:3], s[10:11]
	v_readfirstlane_b32 s15, v1
	s_mul_i32 s14, s2, s12
	s_mul_hi_u32 s16, s2, s15
	s_mul_hi_u32 s13, s2, s12
	s_add_u32 s14, s16, s14
	s_addc_u32 s13, 0, s13
	s_mul_hi_u32 s17, s3, s15
	s_mul_i32 s15, s3, s15
	s_add_u32 s14, s14, s15
	s_mul_hi_u32 s16, s3, s12
	s_addc_u32 s13, s13, s17
	s_addc_u32 s14, s16, 0
	s_mul_i32 s12, s3, s12
	s_add_u32 s12, s13, s12
	s_addc_u32 s13, 0, s14
	s_add_u32 s14, s12, 1
	s_addc_u32 s15, s13, 0
	s_add_u32 s16, s12, 2
	s_mul_i32 s18, s58, s13
	s_mul_hi_u32 s19, s58, s12
	s_addc_u32 s17, s13, 0
	s_add_i32 s19, s19, s18
	s_mul_i32 s18, s58, s12
	v_mov_b32_e32 v1, s18
	v_sub_co_u32_e32 v1, vcc, s2, v1
	s_cmp_lg_u64 vcc, 0
	s_subb_u32 s2, s3, s19
	v_subrev_co_u32_e32 v4, vcc, s58, v1
	s_cmp_lg_u64 vcc, 0
	s_subb_u32 s3, s2, 0
	v_readfirstlane_b32 s18, v4
	s_cmp_ge_u32 s18, s58
	s_cselect_b32 s18, -1, 0
	s_cmp_eq_u32 s3, 0
	s_cselect_b32 s3, s18, -1
	s_cmp_lg_u32 s3, 0
	s_cselect_b32 s3, s17, s15
	v_readfirstlane_b32 s15, v1
	s_cselect_b32 s14, s16, s14
	s_cmp_ge_u32 s15, s58
	s_cselect_b32 s15, -1, 0
	s_cmp_eq_u32 s2, 0
	s_cselect_b32 s2, s15, -1
	s_cmp_lg_u32 s2, 0
	s_cselect_b32 s3, s3, s13
	s_cselect_b32 s2, s14, s12
	s_xor_b64 s[2:3], s[2:3], s[10:11]
	s_sub_u32 s2, s2, s10
	s_subb_u32 s3, s3, s10
	s_cbranch_execnz .LBB17_5
.LBB17_4:
	v_cvt_f32_u32_e32 v1, s58
	s_sub_i32 s0, 0, s58
	s_mov_b32 s3, 0
	v_rcp_iflag_f32_e32 v1, v1
	v_mul_f32_e32 v1, 0x4f7ffffe, v1
	v_cvt_u32_f32_e32 v1, v1
	v_readfirstlane_b32 s1, v1
	s_mul_i32 s0, s0, s1
	s_mul_hi_u32 s0, s1, s0
	s_add_i32 s1, s1, s0
	s_mul_hi_u32 s0, s9, s1
	s_mul_i32 s2, s0, s58
	s_sub_i32 s2, s9, s2
	s_add_i32 s1, s0, 1
	s_sub_i32 s9, s2, s58
	s_cmp_ge_u32 s2, s58
	s_cselect_b32 s0, s1, s0
	s_cselect_b32 s2, s9, s2
	s_add_i32 s1, s0, 1
	s_cmp_ge_u32 s2, s58
	s_cselect_b32 s2, s1, s0
.LBB17_5:
	v_mov_b32_e32 v1, 0
	v_mov_b32_e32 v4, s6
	v_mad_u64_u32 v[12:13], s[0:1], s8, v4, v[0:1]
	s_add_u32 s0, s2, 1
	s_addc_u32 s1, s3, 0
	s_mul_hi_u32 s2, s7, s8
	s_mul_i32 s1, s33, s1
	s_mul_hi_u32 s3, s33, s0
	s_add_i32 s1, s3, s1
	s_mul_i32 s2, s2, s0
	s_add_i32 s1, s1, s2
	s_mul_i32 s0, s33, s0
	s_lshl_b64 s[26:27], s[0:1], 2
	v_cmp_gt_i64_e32 vcc, s[26:27], v[12:13]
	s_and_saveexec_b64 s[0:1], vcc
	s_cbranch_execz .LBB17_82
; %bb.6:
	s_mov_b32 s0, 0x5384540f
	v_mov_b32_e32 v0, v11
	v_add_co_u32_e32 v20, vcc, s0, v10
	s_mov_b32 s0, 0x646e171e
	v_add_co_u32_e32 v21, vcc, s0, v0
	s_mov_b32 s0, 0x1715609d
	;; [unrolled: 2-line block ×6, first 2 shown]
	v_alignbit_b32 v27, v3, v2, 2
	s_mov_b32 s60, 0xd2511f53
	v_add_co_u32_e32 v26, vcc, s0, v10
	v_mad_u64_u32 v[4:5], s[0:1], v27, s60, 0
	v_xor_b32_e32 v1, v5, v11
	v_xor_b32_e32 v1, v1, v13
	s_mov_b32 s61, 0xcd9e8d57
	v_mad_u64_u32 v[6:7], s[0:1], v1, s61, 0
	v_xor_b32_e32 v1, v26, v7
	v_mad_u64_u32 v[8:9], s[0:1], v12, s61, 0
	v_and_b32_e32 v16, 3, v2
	v_xor_b32_e32 v1, v1, v8
	v_xor_b32_e32 v2, v10, v9
	v_lshrrev_b32_e32 v28, 2, v3
	v_mad_u64_u32 v[14:15], s[0:1], v1, s60, 0
	v_xor_b32_e32 v2, v2, v28
	v_xor_b32_e32 v1, v25, v15
	v_mad_u64_u32 v[2:3], s[0:1], v2, s60, 0
	v_xor_b32_e32 v1, v1, v2
	v_mad_u64_u32 v[8:9], s[0:1], v1, s61, 0
	s_mov_b32 s0, 0xbb67ae85
	v_add_co_u32_e32 v29, vcc, s0, v0
	v_xor_b32_e32 v2, v29, v3
	v_xor_b32_e32 v2, v2, v4
	v_xor_b32_e32 v1, v24, v9
	v_mad_u64_u32 v[2:3], s[0:1], v2, s61, 0
	v_xor_b32_e32 v1, v1, v2
	v_mad_u64_u32 v[4:5], s[0:1], v1, s60, 0
	s_mov_b32 s0, 0x3c6ef372
	v_add_co_u32_e32 v30, vcc, s0, v10
	v_xor_b32_e32 v2, v30, v3
	;; [unrolled: 8-line block ×6, first 2 shown]
	v_add_co_u32_e32 v19, vcc, 0xdb3d7428, v0
	v_xor_b32_e32 v2, v2, v6
	v_xor_b32_e32 v1, v19, v39
	v_mad_u64_u32 v[2:3], s[0:1], v2, s60, 0
	v_xor_b32_e32 v1, v1, v2
	v_mad_u64_u32 v[40:41], s[0:1], v1, s61, 0
	s_mov_b32 s0, 0x1fd5c5a3
	v_add_co_u32_e32 v35, vcc, s0, v0
	v_xor_b32_e32 v0, v35, v3
	v_xor_b32_e32 v0, v0, v14
	s_load_dwordx2 s[46:47], s[4:5], 0xf4
	s_load_dwordx4 s[28:31], s[4:5], 0x138
	v_mad_u64_u32 v[0:1], s[0:1], v0, s61, 0
	s_mov_b32 s0, 0xf1bbcdc8
	v_add_u32_e32 v17, 0x8ff34781, v10
	v_xor_b32_e32 v0, v41, v0
	v_add_co_u32_e32 v36, vcc, s0, v10
	v_xor_b32_e32 v4, v17, v0
	v_xor_b32_e32 v0, v36, v1
	;; [unrolled: 1-line block ×3, first 2 shown]
	s_waitcnt lgkmcnt(0)
	v_cvt_f32_f64_e32 v2, s[30:31]
	v_mad_u64_u32 v[0:1], s[0:1], v0, s60, 0
	v_sub_f32_e32 v3, 1.0, v2
	v_add_u32_e32 v18, 0x96a522ad, v11
	v_xor_b32_e32 v1, v1, v38
	v_mov_b32_e32 v7, v0
	v_add_f32_e32 v0, -1.0, v3
	v_xor_b32_e32 v6, v18, v1
	v_sub_f32_e32 v1, v0, v3
	v_add_f32_e32 v1, 1.0, v1
	v_sub_f32_e64 v0, -v2, v0
	v_add_f32_e32 v8, v0, v1
	v_frexp_mant_f32_e32 v9, v3
	s_mov_b32 s2, 0x3f2aaaab
	v_cvt_f64_f32_e32 v[0:1], v3
	v_frexp_exp_i32_f64_e32 v0, v[0:1]
	v_cmp_gt_f32_e32 vcc, s2, v9
	v_subbrev_co_u32_e32 v0, vcc, 0, v0, vcc
	v_sub_u32_e32 v1, 0, v0
	v_ldexp_f32 v3, v3, v1
	v_ldexp_f32 v1, v8, v1
	v_add_f32_e32 v8, -1.0, v3
	v_add_f32_e32 v15, 1.0, v3
	v_add_f32_e32 v9, 1.0, v8
	v_add_f32_e32 v37, -1.0, v15
	v_sub_f32_e32 v9, v3, v9
	v_sub_f32_e32 v3, v3, v37
	v_add_f32_e32 v9, v1, v9
	v_add_f32_e32 v1, v1, v3
	;; [unrolled: 1-line block ×3, first 2 shown]
	v_rcp_f32_e32 v37, v3
	v_add_f32_e32 v14, v8, v9
	v_sub_f32_e32 v8, v14, v8
	v_sub_f32_e32 v8, v9, v8
	;; [unrolled: 1-line block ×4, first 2 shown]
	v_mul_f32_e32 v9, v14, v37
	v_mul_f32_e32 v15, v3, v9
	v_fma_f32 v38, v9, v3, -v15
	v_fmac_f32_e32 v38, v9, v1
	v_add_f32_e32 v39, v15, v38
	v_mov_b32_e32 v5, v40
	v_sub_f32_e32 v40, v14, v39
	v_sub_f32_e32 v14, v14, v40
	;; [unrolled: 1-line block ×4, first 2 shown]
	v_add_f32_e32 v8, v8, v14
	v_sub_f32_e32 v14, v15, v38
	v_add_f32_e32 v8, v14, v8
	v_add_f32_e32 v14, v40, v8
	v_mul_f32_e32 v15, v37, v14
	v_mul_f32_e32 v38, v3, v15
	v_fma_f32 v3, v15, v3, -v38
	v_fmac_f32_e32 v3, v15, v1
	v_sub_f32_e32 v1, v40, v14
	v_add_f32_e32 v1, v8, v1
	v_add_f32_e32 v8, v38, v3
	v_sub_f32_e32 v39, v14, v8
	v_sub_f32_e32 v14, v14, v39
	;; [unrolled: 1-line block ×4, first 2 shown]
	v_add_f32_e32 v1, v1, v8
	v_sub_f32_e32 v3, v38, v3
	v_add_f32_e32 v1, v3, v1
	v_add_f32_e32 v3, v9, v15
	;; [unrolled: 1-line block ×3, first 2 shown]
	v_sub_f32_e32 v8, v3, v9
	v_mul_f32_e32 v1, v37, v1
	v_sub_f32_e32 v8, v15, v8
	v_add_f32_e32 v1, v8, v1
	v_cvt_f32_i32_e32 v0, v0
	v_add_f32_e32 v8, v3, v1
	v_mul_f32_e32 v9, v8, v8
	v_mov_b32_e32 v14, 0x3ecc95a3
	v_fmac_f32_e32 v14, 0x3e9b6dac, v9
	v_mov_b32_e32 v15, 0x3f2aaada
	v_fmac_f32_e32 v15, v9, v14
	s_mov_b32 s2, 0x3f317218
	v_mul_f32_e32 v14, 0x3f317218, v0
	v_fma_f32 v37, v0, s2, -v14
	v_fmac_f32_e32 v37, 0xb102e308, v0
	v_sub_f32_e32 v0, v8, v3
	v_sub_f32_e32 v0, v1, v0
	v_add_f32_e32 v1, v14, v37
	v_sub_f32_e32 v3, v1, v14
	v_ldexp_f32 v14, v8, 1
	v_mul_f32_e32 v8, v8, v9
	v_mul_f32_e32 v8, v8, v15
	v_add_f32_e32 v9, v14, v8
	v_sub_f32_e32 v14, v9, v14
	v_ldexp_f32 v0, v0, 1
	v_sub_f32_e32 v8, v8, v14
	v_add_f32_e32 v0, v0, v8
	v_add_f32_e32 v8, v9, v0
	v_sub_f32_e32 v9, v8, v9
	v_sub_f32_e32 v0, v0, v9
	v_add_f32_e32 v9, v1, v8
	v_sub_f32_e32 v14, v9, v1
	v_sub_f32_e32 v15, v9, v14
	;; [unrolled: 1-line block ×5, first 2 shown]
	v_add_f32_e32 v1, v8, v1
	v_add_f32_e32 v8, v3, v0
	v_sub_f32_e32 v14, v8, v3
	v_sub_f32_e32 v15, v8, v14
	;; [unrolled: 1-line block ×4, first 2 shown]
	v_add_f32_e32 v1, v8, v1
	v_add_f32_e32 v0, v0, v3
	;; [unrolled: 1-line block ×3, first 2 shown]
	s_load_dwordx8 s[8:15], s[4:5], 0x30
	v_sub_f32_e32 v8, v3, v9
	v_sub_f32_e32 v1, v1, v8
	v_add_f32_e32 v0, v0, v1
	s_mov_b32 s2, 0xff800000
	v_add_f32_e32 v0, v3, v0
	v_cmp_eq_f32_e32 vcc, s2, v2
	s_add_u32 s34, s4, 48
	v_cndmask_b32_e64 v0, v0, -v2, vcc
	v_mov_b32_e32 v1, 0x7fc00000
	v_cmp_nlt_f32_e32 vcc, 1.0, v2
	s_addc_u32 s35, s5, 0
	s_waitcnt lgkmcnt(0)
	s_add_i32 s0, s8, -1
	v_cndmask_b32_e32 v0, v1, v0, vcc
	v_mov_b32_e32 v1, 0xff800000
	v_cmp_neq_f32_e32 vcc, 1.0, v2
	s_cmp_gt_u32 s0, 1
	v_cndmask_b32_e32 v0, v1, v0, vcc
	v_log_f32_e32 v1, s0
	s_cselect_b64 s[40:41], -1, 0
	s_cmp_lg_u32 s8, 0
	s_cselect_b64 s[42:43], -1, 0
	s_add_u32 s44, s4, 0xf4
	s_mov_b32 s2, 0x33800000
	s_addc_u32 s45, s5, 0
	s_min_u32 s1, s0, 15
	v_cmp_lt_f32_e64 s[2:3], |v2|, s2
	s_cmp_gt_u32 s8, 1
	v_cndmask_b32_e64 v37, v0, -v2, s[2:3]
	s_mov_b32 s8, 0x3f317217
	v_mul_f32_e32 v0, 0x3f317217, v1
	v_fma_f32 v2, v1, s8, -v0
	v_fmac_f32_e32 v2, 0x3377d1cf, v1
	s_mov_b32 s15, 0x7f800000
	v_add_f32_e32 v0, v0, v2
	v_cmp_lt_f32_e64 vcc, |v1|, s15
	v_cndmask_b32_e32 v0, v1, v0, vcc
	v_div_scale_f32 v1, s[2:3], v37, v37, v0
	v_rcp_f32_e32 v2, v1
	s_cselect_b64 s[48:49], -1, 0
	s_add_i32 s1, s1, 1
	s_lshl_b32 s62, s33, 1
	v_fma_f32 v3, -v1, v2, 1.0
	v_fmac_f32_e32 v2, v3, v2
	v_div_scale_f32 v3, vcc, v0, v37, v0
	v_mul_f32_e32 v8, v3, v2
	v_fma_f32 v9, -v1, v8, v3
	v_fmac_f32_e32 v8, v9, v2
	v_fma_f32 v1, -v1, v8, v3
	v_div_fmas_f32 v1, v1, v2, v8
	v_div_fixup_f32 v0, v1, v37, v0
	v_ceil_f32_e32 v0, v0
	s_and_b32 s66, s1, 3
	v_cvt_i32_f32_e32 v38, v0
	s_cmp_lg_u32 s0, 2
	s_cselect_b64 s[30:31], -1, 0
	s_and_b32 s67, s1, 28
	s_mov_b32 s59, 0
	s_cmp_lg_u32 s66, 0
	s_mov_b32 s63, s59
	s_mul_i32 s64, s33, 3
	s_mov_b32 s65, s59
	s_mov_b64 s[50:51], 0
	s_cselect_b64 s[52:53], -1, 0
	s_mov_b32 s68, 0x800000
	v_mov_b32_e32 v39, 0x4f800000
	v_mov_b32_e32 v40, 0x41b17218
	;; [unrolled: 1-line block ×4, first 2 shown]
	s_branch .LBB17_9
.LBB17_7:                               ;   in Loop: Header=BB17_9 Depth=1
	global_store_short v6, v38, s[28:29]
.LBB17_8:                               ;   in Loop: Header=BB17_9 Depth=1
	s_or_b64 exec, exec, s[36:37]
	v_add_co_u32_e32 v12, vcc, s58, v12
	v_mov_b32_e32 v3, v14
	v_addc_co_u32_e32 v13, vcc, 0, v13, vcc
	v_cmp_le_i64_e32 vcc, s[26:27], v[12:13]
	v_pk_mov_b32 v[6:7], v[2:3], v[2:3] op_sel:[0,1]
	s_or_b64 s[50:51], vcc, s[50:51]
	v_pk_mov_b32 v[4:5], v[0:1], v[0:1] op_sel:[0,1]
	s_barrier
	s_andn2_b64 exec, exec, s[50:51]
	s_cbranch_execz .LBB17_82
.LBB17_9:                               ; =>This Loop Header: Depth=1
                                        ;     Child Loop BB17_24 Depth 2
                                        ;     Child Loop BB17_30 Depth 2
	;; [unrolled: 1-line block ×8, first 2 shown]
	v_add_co_u32_e32 v27, vcc, 1, v27
	v_cndmask_b32_e64 v0, 0, 1, vcc
	v_addc_co_u32_e32 v28, vcc, 0, v28, vcc
	v_cmp_eq_u32_e32 vcc, 0, v28
	v_cndmask_b32_e32 v0, 0, v0, vcc
	v_add_u32_e32 v41, v0, v41
	v_cmp_eq_u32_e32 vcc, 0, v41
	v_cndmask_b32_e32 v0, 0, v0, vcc
	v_add_u32_e32 v42, v0, v42
	v_mad_u64_u32 v[0:1], s[0:1], v27, s60, 0
	v_mad_u64_u32 v[2:3], s[0:1], v41, s61, 0
	v_xor_b32_e32 v1, v1, v11
	v_xor_b32_e32 v3, v3, v10
	v_xor_b32_e32 v1, v42, v1
	v_xor_b32_e32 v3, v28, v3
	v_mad_u64_u32 v[14:15], s[0:1], v1, s61, 0
	v_mad_u64_u32 v[8:9], s[0:1], v3, s60, 0
	v_xor_b32_e32 v1, v26, v15
	v_xor_b32_e32 v1, v1, v2
	v_xor_b32_e32 v2, v29, v9
	v_xor_b32_e32 v2, v2, v0
	v_mad_u64_u32 v[0:1], s[0:1], v1, s60, 0
	v_mad_u64_u32 v[2:3], s[0:1], v2, s61, 0
	v_xor_b32_e32 v1, v25, v1
	v_xor_b32_e32 v3, v30, v3
	v_xor_b32_e32 v1, v1, v8
	v_xor_b32_e32 v3, v3, v14
	v_mad_u64_u32 v[14:15], s[0:1], v1, s61, 0
	v_mad_u64_u32 v[8:9], s[0:1], v3, s60, 0
	v_xor_b32_e32 v1, v24, v15
	v_xor_b32_e32 v1, v1, v2
	v_xor_b32_e32 v2, v31, v9
	v_xor_b32_e32 v2, v2, v0
	v_mad_u64_u32 v[0:1], s[0:1], v1, s60, 0
	v_mad_u64_u32 v[2:3], s[0:1], v2, s61, 0
	v_xor_b32_e32 v1, v23, v1
	v_xor_b32_e32 v3, v32, v3
	v_xor_b32_e32 v1, v1, v8
	v_xor_b32_e32 v3, v3, v14
	v_mad_u64_u32 v[14:15], s[0:1], v1, s61, 0
	v_mad_u64_u32 v[8:9], s[0:1], v3, s60, 0
	v_xor_b32_e32 v1, v22, v15
	v_xor_b32_e32 v1, v1, v2
	v_xor_b32_e32 v2, v33, v9
	v_xor_b32_e32 v2, v2, v0
	v_mad_u64_u32 v[0:1], s[0:1], v1, s60, 0
	v_mad_u64_u32 v[2:3], s[0:1], v2, s61, 0
	v_xor_b32_e32 v1, v21, v1
	v_xor_b32_e32 v3, v34, v3
	v_xor_b32_e32 v1, v1, v8
	v_xor_b32_e32 v3, v3, v14
	v_mad_u64_u32 v[14:15], s[0:1], v1, s61, 0
	v_mad_u64_u32 v[8:9], s[0:1], v3, s60, 0
	v_xor_b32_e32 v1, v20, v15
	v_xor_b32_e32 v1, v1, v2
	v_xor_b32_e32 v2, v35, v9
	v_xor_b32_e32 v0, v2, v0
	v_mad_u64_u32 v[2:3], s[0:1], v1, s60, 0
	v_mad_u64_u32 v[0:1], s[0:1], v0, s61, 0
	v_xor_b32_e32 v1, v36, v1
	v_xor_b32_e32 v1, v1, v14
	v_xor_b32_e32 v3, v19, v3
	v_xor_b32_e32 v3, v3, v8
	v_mad_u64_u32 v[14:15], s[0:1], v1, s60, 0
	v_mad_u64_u32 v[8:9], s[0:1], v3, s61, 0
	v_xor_b32_e32 v1, v15, v2
	v_xor_b32_e32 v0, v9, v0
	v_xor_b32_e32 v9, v18, v1
	v_xor_b32_e32 v0, v17, v0
	v_mov_b32_e32 v1, v8
	v_mov_b32_e32 v2, v9
	v_cmp_lt_i32_e32 vcc, 1, v16
	s_and_saveexec_b64 s[0:1], vcc
	s_xor_b64 s[0:1], exec, s[0:1]
	s_cbranch_execz .LBB17_15
; %bb.10:                               ;   in Loop: Header=BB17_9 Depth=1
	v_cmp_lt_i32_e32 vcc, 2, v16
	s_and_saveexec_b64 s[2:3], vcc
	s_xor_b64 s[2:3], exec, s[2:3]
; %bb.11:                               ;   in Loop: Header=BB17_9 Depth=1
	v_mov_b32_e32 v6, v7
	v_mov_b32_e32 v7, v0
	v_pk_mov_b32 v[4:5], v[6:7], v[6:7] op_sel:[0,1]
	v_pk_mov_b32 v[6:7], v[8:9], v[8:9] op_sel:[0,1]
                                        ; implicit-def: $vgpr8_vgpr9
; %bb.12:                               ;   in Loop: Header=BB17_9 Depth=1
	s_andn2_saveexec_b64 s[2:3], s[2:3]
; %bb.13:                               ;   in Loop: Header=BB17_9 Depth=1
	v_mov_b32_e32 v4, v6
	v_mov_b32_e32 v5, v7
	;; [unrolled: 1-line block ×4, first 2 shown]
; %bb.14:                               ;   in Loop: Header=BB17_9 Depth=1
	s_or_b64 exec, exec, s[2:3]
.LBB17_15:                              ;   in Loop: Header=BB17_9 Depth=1
	s_andn2_saveexec_b64 s[0:1], s[0:1]
	s_cbranch_execz .LBB17_19
; %bb.16:                               ;   in Loop: Header=BB17_9 Depth=1
	v_cmp_eq_u32_e32 vcc, 1, v16
	s_and_saveexec_b64 s[2:3], vcc
; %bb.17:                               ;   in Loop: Header=BB17_9 Depth=1
	v_mov_b32_e32 v4, v5
	v_mov_b32_e32 v5, v6
	;; [unrolled: 1-line block ×4, first 2 shown]
; %bb.18:                               ;   in Loop: Header=BB17_9 Depth=1
	s_or_b64 exec, exec, s[2:3]
.LBB17_19:                              ;   in Loop: Header=BB17_9 Depth=1
	s_or_b64 exec, exec, s[0:1]
	v_cndmask_b32_e64 v3, 0, 1, s[40:41]
	v_cmp_gt_i64_e32 vcc, s[24:25], v[12:13]
	v_cmp_ne_u32_e64 s[0:1], 1, v3
	s_and_saveexec_b64 s[54:55], vcc
	s_cbranch_execz .LBB17_35
; %bb.20:                               ;   in Loop: Header=BB17_9 Depth=1
	s_and_b64 vcc, exec, s[0:1]
	s_cbranch_vccnz .LBB17_26
; %bb.21:                               ;   in Loop: Header=BB17_9 Depth=1
	s_andn2_b64 vcc, exec, s[42:43]
	s_cbranch_vccnz .LBB17_27
; %bb.22:                               ;   in Loop: Header=BB17_9 Depth=1
	s_mov_b32 s4, 0
	s_andn2_b64 vcc, exec, s[30:31]
	v_mov_b32_e32 v8, 0
	s_cbranch_vccnz .LBB17_28
; %bb.23:                               ;   in Loop: Header=BB17_9 Depth=1
	s_mov_b32 s69, 0
	v_mov_b32_e32 v8, 0
	s_mov_b64 s[2:3], s[34:35]
	s_mov_b64 s[56:57], s[44:45]
	v_mov_b32_e32 v3, v12
.LBB17_24:                              ;   Parent Loop BB17_9 Depth=1
                                        ; =>  This Inner Loop Header: Depth=2
	s_load_dwordx8 s[16:23], s[2:3], 0x4
	s_load_dwordx4 s[4:7], s[2:3], 0x24
	s_load_dwordx4 s[36:39], s[56:57], 0x0
	s_add_u32 s2, s2, 48
	s_addc_u32 s3, s3, 0
	s_waitcnt lgkmcnt(0)
	v_mul_hi_u32 v9, s17, v3
	v_add_u32_e32 v9, v3, v9
	v_lshrrev_b32_e32 v9, s18, v9
	v_mul_lo_u32 v15, v9, s16
	v_mul_hi_u32 v43, s20, v9
	v_sub_u32_e32 v3, v3, v15
	v_add_u32_e32 v15, v9, v43
	v_lshrrev_b32_e32 v15, s21, v15
	v_mul_lo_u32 v43, v15, s19
	v_mul_hi_u32 v44, s23, v15
	v_sub_u32_e32 v9, v9, v43
	v_add_u32_e32 v43, v15, v44
	v_mul_lo_u32 v3, v3, s36
	v_mul_lo_u32 v9, v9, s37
	v_lshrrev_b32_e32 v43, s4, v43
	v_add3_u32 v8, v3, v8, v9
	v_mul_lo_u32 v3, v43, s22
	v_mul_hi_u32 v9, s6, v43
	v_sub_u32_e32 v3, v15, v3
	v_add_u32_e32 v9, v43, v9
	v_mul_lo_u32 v15, v3, s38
	v_lshrrev_b32_e32 v3, s7, v9
	s_add_i32 s69, s69, 4
	v_mul_lo_u32 v9, v3, s5
	s_add_u32 s56, s56, 16
	v_sub_u32_e32 v9, v43, v9
	s_addc_u32 s57, s57, 0
	v_mul_lo_u32 v9, v9, s39
	s_cmp_lg_u32 s67, s69
	v_add3_u32 v8, v15, v8, v9
	s_cbranch_scc1 .LBB17_24
; %bb.25:                               ;   in Loop: Header=BB17_9 Depth=1
	s_mov_b32 s4, s67
	s_andn2_b64 vcc, exec, s[52:53]
	s_cbranch_vccz .LBB17_29
	s_branch .LBB17_31
.LBB17_26:                              ;   in Loop: Header=BB17_9 Depth=1
                                        ; implicit-def: $vgpr8
	s_branch .LBB17_32
.LBB17_27:                              ;   in Loop: Header=BB17_9 Depth=1
	v_mov_b32_e32 v8, 0
	s_branch .LBB17_31
.LBB17_28:                              ;   in Loop: Header=BB17_9 Depth=1
	v_mov_b32_e32 v3, v12
	s_andn2_b64 vcc, exec, s[52:53]
	s_cbranch_vccnz .LBB17_31
.LBB17_29:                              ;   in Loop: Header=BB17_9 Depth=1
	s_lshl_b32 s2, s4, 2
	s_add_u32 s2, s44, s2
	s_addc_u32 s3, s45, 0
	s_mul_i32 s4, s4, 12
	s_add_u32 s4, s34, s4
	s_addc_u32 s5, s35, 0
	s_mov_b32 s6, s66
.LBB17_30:                              ;   Parent Loop BB17_9 Depth=1
                                        ; =>  This Inner Loop Header: Depth=2
	s_load_dwordx2 s[16:17], s[4:5], 0x4
	s_load_dword s7, s[4:5], 0xc
	s_load_dword s18, s[2:3], 0x0
	s_add_u32 s4, s4, 12
	s_addc_u32 s5, s5, 0
	s_waitcnt lgkmcnt(0)
	v_mul_hi_u32 v9, s17, v3
	v_add_u32_e32 v9, v3, v9
	v_lshrrev_b32_e32 v9, s7, v9
	s_add_u32 s2, s2, 4
	v_mul_lo_u32 v15, v9, s16
	s_addc_u32 s3, s3, 0
	s_add_i32 s6, s6, -1
	v_sub_u32_e32 v15, v3, v15
	s_cmp_lg_u32 s6, 0
	v_mov_b32_e32 v3, v9
	v_mad_u64_u32 v[8:9], s[16:17], v15, s18, v[8:9]
	s_cbranch_scc1 .LBB17_30
.LBB17_31:                              ;   in Loop: Header=BB17_9 Depth=1
	s_cbranch_execnz .LBB17_34
.LBB17_32:                              ;   in Loop: Header=BB17_9 Depth=1
	v_mul_hi_u32 v3, v12, s10
	v_add_u32_e32 v3, v3, v12
	v_lshrrev_b32_e32 v3, s11, v3
	v_mul_lo_u32 v8, v3, s9
	v_sub_u32_e32 v8, v12, v8
	s_andn2_b64 vcc, exec, s[48:49]
	v_mul_lo_u32 v8, v8, s46
	s_cbranch_vccnz .LBB17_34
; %bb.33:                               ;   in Loop: Header=BB17_9 Depth=1
	v_mul_hi_u32 v9, s13, v3
	v_add_u32_e32 v9, v3, v9
	v_lshrrev_b32_e32 v9, s14, v9
	v_mul_lo_u32 v9, v9, s12
	v_sub_u32_e32 v3, v3, v9
	v_mad_u64_u32 v[8:9], s[2:3], v3, s47, v[8:9]
.LBB17_34:                              ;   in Loop: Header=BB17_9 Depth=1
	v_lshrrev_b32_e32 v3, 11, v5
	v_cvt_f64_u32_e32 v[44:45], v3
	v_ldexp_f64 v[44:45], v[44:45], 32
	v_cvt_f64_u32_e32 v[4:5], v4
	v_add_f64 v[4:5], v[44:45], v[4:5]
	v_mov_b32_e32 v44, 0
	v_mov_b32_e32 v45, 0x3ca00000
	v_fmac_f64_e32 v[44:45], 0x3ca00000, v[4:5]
	v_cvt_f32_f64_e32 v3, v[44:45]
	v_cmp_gt_f32_e32 vcc, s68, v3
	v_cndmask_b32_e32 v4, 1.0, v39, vcc
	v_mul_f32_e32 v3, v3, v4
	v_log_f32_e32 v3, v3
	v_mul_f32_e32 v4, 0x3f317217, v3
	v_fma_f32 v5, v3, s8, -v4
	v_fmac_f32_e32 v5, 0x3377d1cf, v3
	v_add_f32_e32 v4, v4, v5
	v_cmp_lt_f32_e64 s[2:3], |v3|, s15
	v_cndmask_b32_e64 v3, v3, v4, s[2:3]
	v_cndmask_b32_e32 v4, 0, v40, vcc
	v_sub_f32_e32 v3, v3, v4
	v_div_scale_f32 v4, s[2:3], v37, v37, v3
	v_rcp_f32_e32 v5, v4
	v_fma_f32 v9, -v4, v5, 1.0
	v_fmac_f32_e32 v5, v9, v5
	v_div_scale_f32 v9, vcc, v3, v37, v3
	v_mul_f32_e32 v15, v9, v5
	v_fma_f32 v43, -v4, v15, v9
	v_fmac_f32_e32 v15, v43, v5
	v_fma_f32 v4, -v4, v15, v9
	v_div_fmas_f32 v4, v4, v5, v15
	v_div_fixup_f32 v3, v4, v37, v3
	v_ceil_f32_e32 v3, v3
	v_cvt_i32_f32_e32 v3, v3
	global_store_short v8, v3, s[28:29]
.LBB17_35:                              ;   in Loop: Header=BB17_9 Depth=1
	s_or_b64 exec, exec, s[54:55]
	v_mov_b32_e32 v3, s59
	v_add_co_u32_e32 v8, vcc, s33, v12
	v_addc_co_u32_e32 v9, vcc, v13, v3, vcc
	v_cmp_gt_i64_e32 vcc, s[24:25], v[8:9]
	s_and_saveexec_b64 s[54:55], vcc
	s_cbranch_execz .LBB17_51
; %bb.36:                               ;   in Loop: Header=BB17_9 Depth=1
	s_and_b64 vcc, exec, s[0:1]
	s_cbranch_vccnz .LBB17_42
; %bb.37:                               ;   in Loop: Header=BB17_9 Depth=1
	s_andn2_b64 vcc, exec, s[42:43]
	s_cbranch_vccnz .LBB17_43
; %bb.38:                               ;   in Loop: Header=BB17_9 Depth=1
	s_mov_b32 s4, 0
	s_andn2_b64 vcc, exec, s[30:31]
	v_mov_b32_e32 v4, 0
	s_cbranch_vccnz .LBB17_44
; %bb.39:                               ;   in Loop: Header=BB17_9 Depth=1
	s_mov_b32 s69, 0
	v_mov_b32_e32 v4, 0
	s_mov_b64 s[2:3], s[34:35]
	s_mov_b64 s[56:57], s[44:45]
	v_mov_b32_e32 v3, v8
.LBB17_40:                              ;   Parent Loop BB17_9 Depth=1
                                        ; =>  This Inner Loop Header: Depth=2
	s_load_dwordx8 s[16:23], s[2:3], 0x4
	s_load_dwordx4 s[4:7], s[2:3], 0x24
	s_load_dwordx4 s[36:39], s[56:57], 0x0
	s_add_u32 s2, s2, 48
	s_addc_u32 s3, s3, 0
	s_waitcnt lgkmcnt(0)
	v_mul_hi_u32 v5, s17, v3
	v_add_u32_e32 v5, v3, v5
	v_lshrrev_b32_e32 v5, s18, v5
	v_mul_lo_u32 v9, v5, s16
	v_mul_hi_u32 v15, s20, v5
	v_sub_u32_e32 v3, v3, v9
	v_add_u32_e32 v9, v5, v15
	v_lshrrev_b32_e32 v9, s21, v9
	v_mul_lo_u32 v15, v9, s19
	v_mul_hi_u32 v43, s23, v9
	v_sub_u32_e32 v5, v5, v15
	v_add_u32_e32 v15, v9, v43
	v_mul_lo_u32 v3, v3, s36
	v_mul_lo_u32 v5, v5, s37
	v_lshrrev_b32_e32 v15, s4, v15
	v_add3_u32 v4, v3, v4, v5
	v_mul_lo_u32 v3, v15, s22
	v_mul_hi_u32 v5, s6, v15
	v_sub_u32_e32 v3, v9, v3
	v_add_u32_e32 v5, v15, v5
	v_mul_lo_u32 v9, v3, s38
	v_lshrrev_b32_e32 v3, s7, v5
	s_add_i32 s69, s69, 4
	v_mul_lo_u32 v5, v3, s5
	s_add_u32 s56, s56, 16
	v_sub_u32_e32 v5, v15, v5
	s_addc_u32 s57, s57, 0
	v_mul_lo_u32 v5, v5, s39
	s_cmp_eq_u32 s67, s69
	v_add3_u32 v4, v9, v4, v5
	s_cbranch_scc0 .LBB17_40
; %bb.41:                               ;   in Loop: Header=BB17_9 Depth=1
	s_mov_b32 s4, s67
	s_andn2_b64 vcc, exec, s[52:53]
	s_cbranch_vccz .LBB17_45
	s_branch .LBB17_47
.LBB17_42:                              ;   in Loop: Header=BB17_9 Depth=1
                                        ; implicit-def: $vgpr4
	s_branch .LBB17_48
.LBB17_43:                              ;   in Loop: Header=BB17_9 Depth=1
	v_mov_b32_e32 v4, 0
	s_branch .LBB17_47
.LBB17_44:                              ;   in Loop: Header=BB17_9 Depth=1
	v_mov_b32_e32 v3, v8
	s_andn2_b64 vcc, exec, s[52:53]
	s_cbranch_vccnz .LBB17_47
.LBB17_45:                              ;   in Loop: Header=BB17_9 Depth=1
	s_lshl_b32 s2, s4, 2
	s_add_u32 s2, s44, s2
	s_addc_u32 s3, s45, 0
	s_mul_i32 s4, s4, 12
	s_add_u32 s4, s34, s4
	s_addc_u32 s5, s35, 0
	s_mov_b32 s6, s66
.LBB17_46:                              ;   Parent Loop BB17_9 Depth=1
                                        ; =>  This Inner Loop Header: Depth=2
	s_load_dwordx2 s[16:17], s[4:5], 0x4
	s_load_dword s7, s[4:5], 0xc
	s_load_dword s18, s[2:3], 0x0
	s_add_u32 s4, s4, 12
	s_addc_u32 s5, s5, 0
	s_waitcnt lgkmcnt(0)
	v_mul_hi_u32 v5, s17, v3
	v_add_u32_e32 v5, v3, v5
	v_lshrrev_b32_e32 v5, s7, v5
	s_add_u32 s2, s2, 4
	v_mul_lo_u32 v9, v5, s16
	s_addc_u32 s3, s3, 0
	s_add_i32 s6, s6, -1
	v_sub_u32_e32 v9, v3, v9
	s_cmp_lg_u32 s6, 0
	v_mov_b32_e32 v3, v5
	v_mad_u64_u32 v[4:5], s[16:17], v9, s18, v[4:5]
	s_cbranch_scc1 .LBB17_46
.LBB17_47:                              ;   in Loop: Header=BB17_9 Depth=1
	s_cbranch_execnz .LBB17_50
.LBB17_48:                              ;   in Loop: Header=BB17_9 Depth=1
	v_mul_hi_u32 v3, v8, s10
	v_add_u32_e32 v3, v3, v8
	v_lshrrev_b32_e32 v3, s11, v3
	v_mul_lo_u32 v4, v3, s9
	v_sub_u32_e32 v4, v8, v4
	s_andn2_b64 vcc, exec, s[48:49]
	v_mul_lo_u32 v4, v4, s46
	s_cbranch_vccnz .LBB17_50
; %bb.49:                               ;   in Loop: Header=BB17_9 Depth=1
	v_mul_hi_u32 v5, s13, v3
	v_add_u32_e32 v5, v3, v5
	v_lshrrev_b32_e32 v5, s14, v5
	v_mul_lo_u32 v5, v5, s12
	v_sub_u32_e32 v3, v3, v5
	v_mad_u64_u32 v[4:5], s[2:3], v3, s47, v[4:5]
.LBB17_50:                              ;   in Loop: Header=BB17_9 Depth=1
	v_lshrrev_b32_e32 v3, 11, v7
	v_cvt_f64_u32_e32 v[8:9], v3
	v_ldexp_f64 v[8:9], v[8:9], 32
	v_cvt_f64_u32_e32 v[6:7], v6
	v_add_f64 v[6:7], v[8:9], v[6:7]
	v_mov_b32_e32 v8, 0
	v_mov_b32_e32 v9, 0x3ca00000
	v_fmac_f64_e32 v[8:9], 0x3ca00000, v[6:7]
	v_cvt_f32_f64_e32 v3, v[8:9]
	v_cmp_gt_f32_e32 vcc, s68, v3
	v_cndmask_b32_e32 v5, 1.0, v39, vcc
	v_mul_f32_e32 v3, v3, v5
	v_log_f32_e32 v3, v3
	v_mul_f32_e32 v5, 0x3f317217, v3
	v_fma_f32 v6, v3, s8, -v5
	v_fmac_f32_e32 v6, 0x3377d1cf, v3
	v_add_f32_e32 v5, v5, v6
	v_cmp_lt_f32_e64 s[2:3], |v3|, s15
	v_cndmask_b32_e64 v3, v3, v5, s[2:3]
	v_cndmask_b32_e32 v5, 0, v40, vcc
	v_sub_f32_e32 v3, v3, v5
	v_div_scale_f32 v5, s[2:3], v37, v37, v3
	v_rcp_f32_e32 v6, v5
	v_fma_f32 v7, -v5, v6, 1.0
	v_fmac_f32_e32 v6, v7, v6
	v_div_scale_f32 v7, vcc, v3, v37, v3
	v_mul_f32_e32 v8, v7, v6
	v_fma_f32 v9, -v5, v8, v7
	v_fmac_f32_e32 v8, v9, v6
	v_fma_f32 v5, -v5, v8, v7
	v_div_fmas_f32 v5, v5, v6, v8
	v_div_fixup_f32 v3, v5, v37, v3
	v_ceil_f32_e32 v3, v3
	v_cvt_i32_f32_e32 v3, v3
	global_store_short v4, v3, s[28:29]
.LBB17_51:                              ;   in Loop: Header=BB17_9 Depth=1
	s_or_b64 exec, exec, s[54:55]
	v_mov_b32_e32 v3, s63
	v_add_co_u32_e32 v4, vcc, s62, v12
	v_addc_co_u32_e32 v5, vcc, v13, v3, vcc
	v_cmp_gt_i64_e32 vcc, s[24:25], v[4:5]
	s_and_saveexec_b64 s[2:3], vcc
	s_cbranch_execz .LBB17_67
; %bb.52:                               ;   in Loop: Header=BB17_9 Depth=1
	s_and_b64 vcc, exec, s[0:1]
	s_cbranch_vccnz .LBB17_58
; %bb.53:                               ;   in Loop: Header=BB17_9 Depth=1
	s_andn2_b64 vcc, exec, s[42:43]
	s_cbranch_vccnz .LBB17_59
; %bb.54:                               ;   in Loop: Header=BB17_9 Depth=1
	s_mov_b32 s6, 0
	s_andn2_b64 vcc, exec, s[30:31]
	v_mov_b32_e32 v6, 0
	s_cbranch_vccnz .LBB17_60
; %bb.55:                               ;   in Loop: Header=BB17_9 Depth=1
	s_mov_b32 s69, 0
	v_mov_b32_e32 v6, 0
	s_mov_b64 s[54:55], s[34:35]
	s_mov_b64 s[56:57], s[44:45]
	v_mov_b32_e32 v3, v4
.LBB17_56:                              ;   Parent Loop BB17_9 Depth=1
                                        ; =>  This Inner Loop Header: Depth=2
	s_load_dwordx8 s[16:23], s[54:55], 0x4
	s_load_dwordx4 s[4:7], s[54:55], 0x24
	s_load_dwordx4 s[36:39], s[56:57], 0x0
	s_add_u32 s54, s54, 48
	s_addc_u32 s55, s55, 0
	s_waitcnt lgkmcnt(0)
	v_mul_hi_u32 v5, s17, v3
	v_add_u32_e32 v5, v3, v5
	v_lshrrev_b32_e32 v5, s18, v5
	v_mul_lo_u32 v7, v5, s16
	v_mul_hi_u32 v8, s20, v5
	v_sub_u32_e32 v3, v3, v7
	v_add_u32_e32 v7, v5, v8
	v_lshrrev_b32_e32 v7, s21, v7
	v_mul_lo_u32 v8, v7, s19
	v_mul_hi_u32 v9, s23, v7
	v_sub_u32_e32 v5, v5, v8
	v_add_u32_e32 v8, v7, v9
	v_mul_lo_u32 v3, v3, s36
	v_mul_lo_u32 v5, v5, s37
	v_lshrrev_b32_e32 v8, s4, v8
	v_add3_u32 v5, v3, v6, v5
	v_mul_lo_u32 v3, v8, s22
	v_mul_hi_u32 v6, s6, v8
	v_sub_u32_e32 v3, v7, v3
	v_add_u32_e32 v6, v8, v6
	v_mul_lo_u32 v7, v3, s38
	v_lshrrev_b32_e32 v3, s7, v6
	s_add_i32 s69, s69, 4
	v_mul_lo_u32 v6, v3, s5
	s_add_u32 s56, s56, 16
	v_sub_u32_e32 v6, v8, v6
	s_addc_u32 s57, s57, 0
	v_mul_lo_u32 v6, v6, s39
	s_cmp_eq_u32 s67, s69
	v_add3_u32 v6, v7, v5, v6
	s_cbranch_scc0 .LBB17_56
; %bb.57:                               ;   in Loop: Header=BB17_9 Depth=1
	s_mov_b32 s6, s67
	s_andn2_b64 vcc, exec, s[52:53]
	s_cbranch_vccz .LBB17_61
	s_branch .LBB17_63
.LBB17_58:                              ;   in Loop: Header=BB17_9 Depth=1
                                        ; implicit-def: $vgpr6
	s_branch .LBB17_64
.LBB17_59:                              ;   in Loop: Header=BB17_9 Depth=1
	v_mov_b32_e32 v6, 0
	s_branch .LBB17_63
.LBB17_60:                              ;   in Loop: Header=BB17_9 Depth=1
	v_mov_b32_e32 v3, v4
	s_andn2_b64 vcc, exec, s[52:53]
	s_cbranch_vccnz .LBB17_63
.LBB17_61:                              ;   in Loop: Header=BB17_9 Depth=1
	s_lshl_b32 s4, s6, 2
	s_add_u32 s4, s44, s4
	s_addc_u32 s5, s45, 0
	s_mul_i32 s6, s6, 12
	s_add_u32 s6, s34, s6
	s_addc_u32 s7, s35, 0
	s_mov_b32 s16, s66
.LBB17_62:                              ;   Parent Loop BB17_9 Depth=1
                                        ; =>  This Inner Loop Header: Depth=2
	s_load_dwordx2 s[18:19], s[6:7], 0x4
	s_load_dword s17, s[6:7], 0xc
	s_load_dword s20, s[4:5], 0x0
	s_add_u32 s6, s6, 12
	s_addc_u32 s7, s7, 0
	s_waitcnt lgkmcnt(0)
	v_mul_hi_u32 v5, s19, v3
	v_add_u32_e32 v5, v3, v5
	v_lshrrev_b32_e32 v5, s17, v5
	s_add_u32 s4, s4, 4
	v_mul_lo_u32 v7, v5, s18
	s_addc_u32 s5, s5, 0
	s_add_i32 s16, s16, -1
	v_sub_u32_e32 v7, v3, v7
	s_cmp_lg_u32 s16, 0
	v_mov_b32_e32 v3, v5
	v_mad_u64_u32 v[6:7], s[18:19], v7, s20, v[6:7]
	s_cbranch_scc1 .LBB17_62
.LBB17_63:                              ;   in Loop: Header=BB17_9 Depth=1
	s_cbranch_execnz .LBB17_66
.LBB17_64:                              ;   in Loop: Header=BB17_9 Depth=1
	v_mul_hi_u32 v3, v4, s10
	v_add_u32_e32 v3, v3, v4
	v_lshrrev_b32_e32 v3, s11, v3
	v_mul_lo_u32 v5, v3, s9
	v_sub_u32_e32 v4, v4, v5
	s_andn2_b64 vcc, exec, s[48:49]
	v_mul_lo_u32 v6, v4, s46
	s_cbranch_vccnz .LBB17_66
; %bb.65:                               ;   in Loop: Header=BB17_9 Depth=1
	v_mul_hi_u32 v4, s13, v3
	v_add_u32_e32 v4, v3, v4
	v_lshrrev_b32_e32 v4, s14, v4
	v_mul_lo_u32 v4, v4, s12
	v_sub_u32_e32 v3, v3, v4
	v_mad_u64_u32 v[6:7], s[4:5], v3, s47, v[6:7]
.LBB17_66:                              ;   in Loop: Header=BB17_9 Depth=1
	global_store_short v6, v38, s[28:29]
.LBB17_67:                              ;   in Loop: Header=BB17_9 Depth=1
	s_or_b64 exec, exec, s[2:3]
	v_mov_b32_e32 v3, s65
	v_add_co_u32_e32 v4, vcc, s64, v12
	v_addc_co_u32_e32 v5, vcc, v13, v3, vcc
	v_cmp_gt_i64_e32 vcc, s[24:25], v[4:5]
	s_and_saveexec_b64 s[36:37], vcc
	s_cbranch_execz .LBB17_8
; %bb.68:                               ;   in Loop: Header=BB17_9 Depth=1
	s_and_b64 vcc, exec, s[0:1]
	s_cbranch_vccnz .LBB17_74
; %bb.69:                               ;   in Loop: Header=BB17_9 Depth=1
	s_andn2_b64 vcc, exec, s[42:43]
	s_cbranch_vccnz .LBB17_75
; %bb.70:                               ;   in Loop: Header=BB17_9 Depth=1
	s_mov_b32 s2, 0
	s_andn2_b64 vcc, exec, s[30:31]
	v_mov_b32_e32 v6, 0
	s_cbranch_vccnz .LBB17_76
; %bb.71:                               ;   in Loop: Header=BB17_9 Depth=1
	s_mov_b32 s56, 0
	v_mov_b32_e32 v6, 0
	s_mov_b64 s[38:39], s[34:35]
	s_mov_b64 s[54:55], s[44:45]
	v_mov_b32_e32 v3, v4
.LBB17_72:                              ;   Parent Loop BB17_9 Depth=1
                                        ; =>  This Inner Loop Header: Depth=2
	s_load_dwordx8 s[0:7], s[38:39], 0x4
	s_load_dwordx4 s[16:19], s[38:39], 0x24
	s_load_dwordx4 s[20:23], s[54:55], 0x0
	s_add_u32 s38, s38, 48
	s_addc_u32 s39, s39, 0
	s_waitcnt lgkmcnt(0)
	v_mul_hi_u32 v5, s1, v3
	v_add_u32_e32 v5, v3, v5
	v_lshrrev_b32_e32 v5, s2, v5
	v_mul_lo_u32 v7, v5, s0
	v_mul_hi_u32 v8, s4, v5
	v_sub_u32_e32 v3, v3, v7
	v_add_u32_e32 v7, v5, v8
	v_lshrrev_b32_e32 v7, s5, v7
	v_mul_lo_u32 v8, v7, s3
	v_mul_hi_u32 v9, s7, v7
	v_sub_u32_e32 v5, v5, v8
	v_add_u32_e32 v8, v7, v9
	v_mul_lo_u32 v3, v3, s20
	v_mul_lo_u32 v5, v5, s21
	v_lshrrev_b32_e32 v8, s16, v8
	v_add3_u32 v5, v3, v6, v5
	v_mul_lo_u32 v3, v8, s6
	v_mul_hi_u32 v6, s18, v8
	v_sub_u32_e32 v3, v7, v3
	v_add_u32_e32 v6, v8, v6
	v_mul_lo_u32 v7, v3, s22
	v_lshrrev_b32_e32 v3, s19, v6
	s_add_i32 s56, s56, 4
	v_mul_lo_u32 v6, v3, s17
	s_add_u32 s54, s54, 16
	v_sub_u32_e32 v6, v8, v6
	s_addc_u32 s55, s55, 0
	v_mul_lo_u32 v6, v6, s23
	s_cmp_eq_u32 s67, s56
	v_add3_u32 v6, v7, v5, v6
	s_cbranch_scc0 .LBB17_72
; %bb.73:                               ;   in Loop: Header=BB17_9 Depth=1
	s_mov_b32 s2, s67
	s_andn2_b64 vcc, exec, s[52:53]
	s_cbranch_vccz .LBB17_77
	s_branch .LBB17_79
.LBB17_74:                              ;   in Loop: Header=BB17_9 Depth=1
                                        ; implicit-def: $vgpr6
	s_branch .LBB17_80
.LBB17_75:                              ;   in Loop: Header=BB17_9 Depth=1
	v_mov_b32_e32 v6, 0
	s_branch .LBB17_79
.LBB17_76:                              ;   in Loop: Header=BB17_9 Depth=1
	v_mov_b32_e32 v3, v4
	s_andn2_b64 vcc, exec, s[52:53]
	s_cbranch_vccnz .LBB17_79
.LBB17_77:                              ;   in Loop: Header=BB17_9 Depth=1
	s_lshl_b32 s0, s2, 2
	s_add_u32 s0, s44, s0
	s_addc_u32 s1, s45, 0
	s_mul_i32 s2, s2, 12
	s_add_u32 s2, s34, s2
	s_addc_u32 s3, s35, 0
	s_mov_b32 s4, s66
.LBB17_78:                              ;   Parent Loop BB17_9 Depth=1
                                        ; =>  This Inner Loop Header: Depth=2
	s_load_dwordx2 s[6:7], s[2:3], 0x4
	s_load_dword s5, s[2:3], 0xc
	s_load_dword s16, s[0:1], 0x0
	s_add_u32 s2, s2, 12
	s_addc_u32 s3, s3, 0
	s_waitcnt lgkmcnt(0)
	v_mul_hi_u32 v5, s7, v3
	v_add_u32_e32 v5, v3, v5
	v_lshrrev_b32_e32 v5, s5, v5
	s_add_u32 s0, s0, 4
	v_mul_lo_u32 v7, v5, s6
	s_addc_u32 s1, s1, 0
	s_add_i32 s4, s4, -1
	v_sub_u32_e32 v7, v3, v7
	s_cmp_lg_u32 s4, 0
	v_mov_b32_e32 v3, v5
	v_mad_u64_u32 v[6:7], s[6:7], v7, s16, v[6:7]
	s_cbranch_scc1 .LBB17_78
.LBB17_79:                              ;   in Loop: Header=BB17_9 Depth=1
	s_cbranch_execnz .LBB17_7
.LBB17_80:                              ;   in Loop: Header=BB17_9 Depth=1
	v_mul_hi_u32 v3, v4, s10
	v_add_u32_e32 v3, v3, v4
	v_lshrrev_b32_e32 v3, s11, v3
	v_mul_lo_u32 v5, v3, s9
	v_sub_u32_e32 v4, v4, v5
	s_andn2_b64 vcc, exec, s[48:49]
	v_mul_lo_u32 v6, v4, s46
	s_cbranch_vccnz .LBB17_7
; %bb.81:                               ;   in Loop: Header=BB17_9 Depth=1
	v_mul_hi_u32 v4, s13, v3
	v_add_u32_e32 v4, v3, v4
	v_lshrrev_b32_e32 v4, s14, v4
	v_mul_lo_u32 v4, v4, s12
	v_sub_u32_e32 v3, v3, v4
	v_mad_u64_u32 v[6:7], s[0:1], v3, s47, v[6:7]
	s_branch .LBB17_7
.LBB17_82:
	s_endpgm
.LBB17_83:
                                        ; implicit-def: $sgpr2_sgpr3
	s_andn2_b64 vcc, exec, s[0:1]
	s_cbranch_vccz .LBB17_4
	s_branch .LBB17_5
	.section	.rodata,"a",@progbits
	.p2align	6, 0x0
	.amdhsa_kernel _ZN2at6native12_GLOBAL__N_143distribution_elementwise_grid_stride_kernelIfLi4EZNS0_9templates4cuda21uniform_and_transformIsfPNS_17CUDAGeneratorImplEZZZNS4_16geometric_kernelIS7_EEvRNS_18TensorIteratorBaseEdT_ENKUlvE_clEvENKUlvE3_clEvEUlfE_EEvSA_T1_T2_EUlP25hiprandStatePhilox4_32_10E_ZNS1_27distribution_nullary_kernelIsf15HIP_vector_typeIdLj2EES7_SJ_SE_EEvSA_SG_RKT3_T4_EUlifE0_EEvlNS_15PhiloxCudaStateESF_SG_
		.amdhsa_group_segment_fixed_size 0
		.amdhsa_private_segment_fixed_size 0
		.amdhsa_kernarg_size 584
		.amdhsa_user_sgpr_count 6
		.amdhsa_user_sgpr_private_segment_buffer 1
		.amdhsa_user_sgpr_dispatch_ptr 0
		.amdhsa_user_sgpr_queue_ptr 0
		.amdhsa_user_sgpr_kernarg_segment_ptr 1
		.amdhsa_user_sgpr_dispatch_id 0
		.amdhsa_user_sgpr_flat_scratch_init 0
		.amdhsa_user_sgpr_kernarg_preload_length 0
		.amdhsa_user_sgpr_kernarg_preload_offset 0
		.amdhsa_user_sgpr_private_segment_size 0
		.amdhsa_uses_dynamic_stack 0
		.amdhsa_system_sgpr_private_segment_wavefront_offset 0
		.amdhsa_system_sgpr_workgroup_id_x 1
		.amdhsa_system_sgpr_workgroup_id_y 0
		.amdhsa_system_sgpr_workgroup_id_z 0
		.amdhsa_system_sgpr_workgroup_info 0
		.amdhsa_system_vgpr_workitem_id 0
		.amdhsa_next_free_vgpr 46
		.amdhsa_next_free_sgpr 70
		.amdhsa_accum_offset 48
		.amdhsa_reserve_vcc 1
		.amdhsa_reserve_flat_scratch 0
		.amdhsa_float_round_mode_32 0
		.amdhsa_float_round_mode_16_64 0
		.amdhsa_float_denorm_mode_32 3
		.amdhsa_float_denorm_mode_16_64 3
		.amdhsa_dx10_clamp 1
		.amdhsa_ieee_mode 1
		.amdhsa_fp16_overflow 0
		.amdhsa_tg_split 0
		.amdhsa_exception_fp_ieee_invalid_op 0
		.amdhsa_exception_fp_denorm_src 0
		.amdhsa_exception_fp_ieee_div_zero 0
		.amdhsa_exception_fp_ieee_overflow 0
		.amdhsa_exception_fp_ieee_underflow 0
		.amdhsa_exception_fp_ieee_inexact 0
		.amdhsa_exception_int_div_zero 0
	.end_amdhsa_kernel
	.section	.text._ZN2at6native12_GLOBAL__N_143distribution_elementwise_grid_stride_kernelIfLi4EZNS0_9templates4cuda21uniform_and_transformIsfPNS_17CUDAGeneratorImplEZZZNS4_16geometric_kernelIS7_EEvRNS_18TensorIteratorBaseEdT_ENKUlvE_clEvENKUlvE3_clEvEUlfE_EEvSA_T1_T2_EUlP25hiprandStatePhilox4_32_10E_ZNS1_27distribution_nullary_kernelIsf15HIP_vector_typeIdLj2EES7_SJ_SE_EEvSA_SG_RKT3_T4_EUlifE0_EEvlNS_15PhiloxCudaStateESF_SG_,"axG",@progbits,_ZN2at6native12_GLOBAL__N_143distribution_elementwise_grid_stride_kernelIfLi4EZNS0_9templates4cuda21uniform_and_transformIsfPNS_17CUDAGeneratorImplEZZZNS4_16geometric_kernelIS7_EEvRNS_18TensorIteratorBaseEdT_ENKUlvE_clEvENKUlvE3_clEvEUlfE_EEvSA_T1_T2_EUlP25hiprandStatePhilox4_32_10E_ZNS1_27distribution_nullary_kernelIsf15HIP_vector_typeIdLj2EES7_SJ_SE_EEvSA_SG_RKT3_T4_EUlifE0_EEvlNS_15PhiloxCudaStateESF_SG_,comdat
.Lfunc_end17:
	.size	_ZN2at6native12_GLOBAL__N_143distribution_elementwise_grid_stride_kernelIfLi4EZNS0_9templates4cuda21uniform_and_transformIsfPNS_17CUDAGeneratorImplEZZZNS4_16geometric_kernelIS7_EEvRNS_18TensorIteratorBaseEdT_ENKUlvE_clEvENKUlvE3_clEvEUlfE_EEvSA_T1_T2_EUlP25hiprandStatePhilox4_32_10E_ZNS1_27distribution_nullary_kernelIsf15HIP_vector_typeIdLj2EES7_SJ_SE_EEvSA_SG_RKT3_T4_EUlifE0_EEvlNS_15PhiloxCudaStateESF_SG_, .Lfunc_end17-_ZN2at6native12_GLOBAL__N_143distribution_elementwise_grid_stride_kernelIfLi4EZNS0_9templates4cuda21uniform_and_transformIsfPNS_17CUDAGeneratorImplEZZZNS4_16geometric_kernelIS7_EEvRNS_18TensorIteratorBaseEdT_ENKUlvE_clEvENKUlvE3_clEvEUlfE_EEvSA_T1_T2_EUlP25hiprandStatePhilox4_32_10E_ZNS1_27distribution_nullary_kernelIsf15HIP_vector_typeIdLj2EES7_SJ_SE_EEvSA_SG_RKT3_T4_EUlifE0_EEvlNS_15PhiloxCudaStateESF_SG_
                                        ; -- End function
	.section	.AMDGPU.csdata,"",@progbits
; Kernel info:
; codeLenInByte = 5432
; NumSgprs: 74
; NumVgprs: 46
; NumAgprs: 0
; TotalNumVgprs: 46
; ScratchSize: 0
; MemoryBound: 0
; FloatMode: 240
; IeeeMode: 1
; LDSByteSize: 0 bytes/workgroup (compile time only)
; SGPRBlocks: 9
; VGPRBlocks: 5
; NumSGPRsForWavesPerEU: 74
; NumVGPRsForWavesPerEU: 46
; AccumOffset: 48
; Occupancy: 8
; WaveLimiterHint : 1
; COMPUTE_PGM_RSRC2:SCRATCH_EN: 0
; COMPUTE_PGM_RSRC2:USER_SGPR: 6
; COMPUTE_PGM_RSRC2:TRAP_HANDLER: 0
; COMPUTE_PGM_RSRC2:TGID_X_EN: 1
; COMPUTE_PGM_RSRC2:TGID_Y_EN: 0
; COMPUTE_PGM_RSRC2:TGID_Z_EN: 0
; COMPUTE_PGM_RSRC2:TIDIG_COMP_CNT: 0
; COMPUTE_PGM_RSRC3_GFX90A:ACCUM_OFFSET: 11
; COMPUTE_PGM_RSRC3_GFX90A:TG_SPLIT: 0
	.section	.text._ZN2at6native12_GLOBAL__N_143distribution_elementwise_grid_stride_kernelIfLi4EZNS0_9templates4cuda21uniform_and_transformIsfPNS_17CUDAGeneratorImplEZZZNS4_16geometric_kernelIS7_EEvRNS_18TensorIteratorBaseEdT_ENKUlvE_clEvENKUlvE3_clEvEUlfE_EEvSA_T1_T2_EUlP25hiprandStatePhilox4_32_10E0_ZNS1_27distribution_nullary_kernelIsf15HIP_vector_typeIfLj4EES7_SJ_SE_EEvSA_SG_RKT3_T4_EUlifE_EEvlNS_15PhiloxCudaStateESF_SG_,"axG",@progbits,_ZN2at6native12_GLOBAL__N_143distribution_elementwise_grid_stride_kernelIfLi4EZNS0_9templates4cuda21uniform_and_transformIsfPNS_17CUDAGeneratorImplEZZZNS4_16geometric_kernelIS7_EEvRNS_18TensorIteratorBaseEdT_ENKUlvE_clEvENKUlvE3_clEvEUlfE_EEvSA_T1_T2_EUlP25hiprandStatePhilox4_32_10E0_ZNS1_27distribution_nullary_kernelIsf15HIP_vector_typeIfLj4EES7_SJ_SE_EEvSA_SG_RKT3_T4_EUlifE_EEvlNS_15PhiloxCudaStateESF_SG_,comdat
	.globl	_ZN2at6native12_GLOBAL__N_143distribution_elementwise_grid_stride_kernelIfLi4EZNS0_9templates4cuda21uniform_and_transformIsfPNS_17CUDAGeneratorImplEZZZNS4_16geometric_kernelIS7_EEvRNS_18TensorIteratorBaseEdT_ENKUlvE_clEvENKUlvE3_clEvEUlfE_EEvSA_T1_T2_EUlP25hiprandStatePhilox4_32_10E0_ZNS1_27distribution_nullary_kernelIsf15HIP_vector_typeIfLj4EES7_SJ_SE_EEvSA_SG_RKT3_T4_EUlifE_EEvlNS_15PhiloxCudaStateESF_SG_ ; -- Begin function _ZN2at6native12_GLOBAL__N_143distribution_elementwise_grid_stride_kernelIfLi4EZNS0_9templates4cuda21uniform_and_transformIsfPNS_17CUDAGeneratorImplEZZZNS4_16geometric_kernelIS7_EEvRNS_18TensorIteratorBaseEdT_ENKUlvE_clEvENKUlvE3_clEvEUlfE_EEvSA_T1_T2_EUlP25hiprandStatePhilox4_32_10E0_ZNS1_27distribution_nullary_kernelIsf15HIP_vector_typeIfLj4EES7_SJ_SE_EEvSA_SG_RKT3_T4_EUlifE_EEvlNS_15PhiloxCudaStateESF_SG_
	.p2align	8
	.type	_ZN2at6native12_GLOBAL__N_143distribution_elementwise_grid_stride_kernelIfLi4EZNS0_9templates4cuda21uniform_and_transformIsfPNS_17CUDAGeneratorImplEZZZNS4_16geometric_kernelIS7_EEvRNS_18TensorIteratorBaseEdT_ENKUlvE_clEvENKUlvE3_clEvEUlfE_EEvSA_T1_T2_EUlP25hiprandStatePhilox4_32_10E0_ZNS1_27distribution_nullary_kernelIsf15HIP_vector_typeIfLj4EES7_SJ_SE_EEvSA_SG_RKT3_T4_EUlifE_EEvlNS_15PhiloxCudaStateESF_SG_,@function
_ZN2at6native12_GLOBAL__N_143distribution_elementwise_grid_stride_kernelIfLi4EZNS0_9templates4cuda21uniform_and_transformIsfPNS_17CUDAGeneratorImplEZZZNS4_16geometric_kernelIS7_EEvRNS_18TensorIteratorBaseEdT_ENKUlvE_clEvENKUlvE3_clEvEUlfE_EEvSA_T1_T2_EUlP25hiprandStatePhilox4_32_10E0_ZNS1_27distribution_nullary_kernelIsf15HIP_vector_typeIfLj4EES7_SJ_SE_EEvSA_SG_RKT3_T4_EUlifE_EEvlNS_15PhiloxCudaStateESF_SG_: ; @_ZN2at6native12_GLOBAL__N_143distribution_elementwise_grid_stride_kernelIfLi4EZNS0_9templates4cuda21uniform_and_transformIsfPNS_17CUDAGeneratorImplEZZZNS4_16geometric_kernelIS7_EEvRNS_18TensorIteratorBaseEdT_ENKUlvE_clEvENKUlvE3_clEvEUlfE_EEvSA_T1_T2_EUlP25hiprandStatePhilox4_32_10E0_ZNS1_27distribution_nullary_kernelIsf15HIP_vector_typeIfLj4EES7_SJ_SE_EEvSA_SG_RKT3_T4_EUlifE_EEvlNS_15PhiloxCudaStateESF_SG_
; %bb.0:
	s_load_dword s7, s[4:5], 0x20
	s_load_dwordx2 s[10:11], s[4:5], 0x10
	s_load_dwordx4 s[0:3], s[4:5], 0x0
	s_mov_b32 s8, 0
	s_waitcnt lgkmcnt(0)
	s_bitcmp0_b32 s7, 0
	v_pk_mov_b32 v[2:3], s[10:11], s[10:11] op_sel:[0,1]
	v_pk_mov_b32 v[14:15], s[2:3], s[2:3] op_sel:[0,1]
	s_cbranch_scc1 .LBB18_2
; %bb.1:
	v_pk_mov_b32 v[2:3], s[10:11], s[10:11] op_sel:[0,1]
	flat_load_dwordx2 v[2:3], v[2:3]
	v_pk_mov_b32 v[4:5], s[2:3], s[2:3] op_sel:[0,1]
	flat_load_dwordx2 v[14:15], v[4:5]
	s_load_dwordx2 s[2:3], s[4:5], 0x18
	s_waitcnt lgkmcnt(0)
	v_mov_b32_e32 v1, s3
	s_waitcnt vmcnt(0)
	v_add_co_u32_e32 v2, vcc, s2, v2
	v_addc_co_u32_e32 v3, vcc, v3, v1, vcc
.LBB18_2:
	s_load_dword s2, s[4:5], 0x54
	s_load_dword s21, s[4:5], 0x48
	s_waitcnt lgkmcnt(0)
	s_and_b32 s7, s2, 0xffff
	s_add_u32 s10, s0, -1
	s_mul_i32 s12, s21, s7
	s_addc_u32 s9, s1, -1
	s_lshl_b32 s13, s12, 2
	s_cmp_lg_u64 s[8:9], 0
	s_mov_b64 s[2:3], -1
	s_cbranch_scc0 .LBB18_27
; %bb.3:
	v_cvt_f32_u32_e32 v1, s13
	v_cvt_f32_ubyte0_e32 v4, 0
	s_sub_u32 s8, 0, s13
	s_subb_u32 s11, 0, 0
	v_madmk_f32 v1, v4, 0x4f800000, v1
	v_rcp_f32_e32 v1, v1
	v_mul_f32_e32 v1, 0x5f7ffffc, v1
	v_mul_f32_e32 v4, 0x2f800000, v1
	v_trunc_f32_e32 v4, v4
	v_madmk_f32 v1, v4, 0xcf800000, v1
	v_cvt_u32_f32_e32 v4, v4
	v_cvt_u32_f32_e32 v1, v1
	v_readfirstlane_b32 s14, v4
	v_readfirstlane_b32 s15, v1
	s_mul_i32 s16, s8, s14
	s_mul_hi_u32 s18, s8, s15
	s_mul_i32 s17, s11, s15
	s_add_i32 s16, s18, s16
	s_add_i32 s16, s16, s17
	s_mul_i32 s19, s8, s15
	s_mul_hi_u32 s17, s15, s16
	s_mul_i32 s18, s15, s16
	s_mul_hi_u32 s15, s15, s19
	s_add_u32 s15, s15, s18
	s_addc_u32 s17, 0, s17
	s_mul_hi_u32 s20, s14, s19
	s_mul_i32 s19, s14, s19
	s_add_u32 s15, s15, s19
	s_mul_hi_u32 s18, s14, s16
	s_addc_u32 s15, s17, s20
	s_addc_u32 s17, s18, 0
	s_mul_i32 s16, s14, s16
	s_add_u32 s15, s15, s16
	s_addc_u32 s16, 0, s17
	v_add_co_u32_e32 v1, vcc, s15, v1
	s_cmp_lg_u64 vcc, 0
	s_addc_u32 s14, s14, s16
	v_readfirstlane_b32 s16, v1
	s_mul_i32 s15, s8, s14
	s_mul_hi_u32 s17, s8, s16
	s_add_i32 s15, s17, s15
	s_mul_i32 s11, s11, s16
	s_add_i32 s15, s15, s11
	s_mul_i32 s8, s8, s16
	s_mul_hi_u32 s17, s14, s8
	s_mul_i32 s18, s14, s8
	s_mul_i32 s20, s16, s15
	s_mul_hi_u32 s8, s16, s8
	s_mul_hi_u32 s19, s16, s15
	s_add_u32 s8, s8, s20
	s_addc_u32 s16, 0, s19
	s_add_u32 s8, s8, s18
	s_mul_hi_u32 s11, s14, s15
	s_addc_u32 s8, s16, s17
	s_addc_u32 s11, s11, 0
	s_mul_i32 s15, s14, s15
	s_add_u32 s8, s8, s15
	s_addc_u32 s11, 0, s11
	v_add_co_u32_e32 v1, vcc, s8, v1
	s_cmp_lg_u64 vcc, 0
	s_addc_u32 s11, s14, s11
	s_ashr_i32 s14, s9, 31
	s_add_u32 s8, s10, s14
	s_mov_b32 s15, s14
	s_addc_u32 s9, s9, s14
	s_xor_b64 s[8:9], s[8:9], s[14:15]
	v_readfirstlane_b32 s18, v1
	s_mul_i32 s17, s8, s11
	s_mul_hi_u32 s19, s8, s18
	s_mul_hi_u32 s16, s8, s11
	s_add_u32 s17, s19, s17
	s_addc_u32 s16, 0, s16
	s_mul_hi_u32 s20, s9, s18
	s_mul_i32 s18, s9, s18
	s_add_u32 s17, s17, s18
	s_mul_hi_u32 s19, s9, s11
	s_addc_u32 s16, s16, s20
	s_addc_u32 s17, s19, 0
	s_mul_i32 s11, s9, s11
	s_add_u32 s11, s16, s11
	s_addc_u32 s16, 0, s17
	s_add_u32 s17, s11, 1
	s_addc_u32 s18, s16, 0
	s_add_u32 s19, s11, 2
	s_mul_i32 s22, s13, s16
	s_mul_hi_u32 s23, s13, s11
	s_addc_u32 s20, s16, 0
	s_add_i32 s23, s23, s22
	s_mul_i32 s22, s13, s11
	v_mov_b32_e32 v1, s22
	v_sub_co_u32_e32 v1, vcc, s8, v1
	s_cmp_lg_u64 vcc, 0
	s_subb_u32 s8, s9, s23
	v_subrev_co_u32_e32 v4, vcc, s13, v1
	s_cmp_lg_u64 vcc, 0
	s_subb_u32 s9, s8, 0
	v_readfirstlane_b32 s22, v4
	s_cmp_ge_u32 s22, s13
	s_cselect_b32 s22, -1, 0
	s_cmp_eq_u32 s9, 0
	s_cselect_b32 s9, s22, -1
	s_cmp_lg_u32 s9, 0
	s_cselect_b32 s9, s20, s18
	v_readfirstlane_b32 s18, v1
	s_cselect_b32 s17, s19, s17
	s_cmp_ge_u32 s18, s13
	s_cselect_b32 s18, -1, 0
	s_cmp_eq_u32 s8, 0
	s_cselect_b32 s8, s18, -1
	s_cmp_lg_u32 s8, 0
	s_cselect_b32 s9, s9, s16
	s_cselect_b32 s8, s17, s11
	s_xor_b64 s[8:9], s[8:9], s[14:15]
	s_sub_u32 s8, s8, s14
	s_subb_u32 s9, s9, s14
	s_cbranch_execnz .LBB18_5
.LBB18_4:
	v_cvt_f32_u32_e32 v1, s13
	s_sub_i32 s2, 0, s13
	s_mov_b32 s9, 0
	v_rcp_iflag_f32_e32 v1, v1
	v_mul_f32_e32 v1, 0x4f7ffffe, v1
	v_cvt_u32_f32_e32 v1, v1
	v_readfirstlane_b32 s3, v1
	s_mul_i32 s2, s2, s3
	s_mul_hi_u32 s2, s3, s2
	s_add_i32 s3, s3, s2
	s_mul_hi_u32 s2, s10, s3
	s_mul_i32 s8, s2, s13
	s_sub_i32 s8, s10, s8
	s_add_i32 s3, s2, 1
	s_sub_i32 s10, s8, s13
	s_cmp_ge_u32 s8, s13
	s_cselect_b32 s2, s3, s2
	s_cselect_b32 s8, s10, s8
	s_add_i32 s3, s2, 1
	s_cmp_ge_u32 s8, s13
	s_cselect_b32 s8, s3, s2
.LBB18_5:
	v_mov_b32_e32 v1, 0
	v_mov_b32_e32 v4, s6
	v_mad_u64_u32 v[16:17], s[2:3], s7, v4, v[0:1]
	s_add_u32 s2, s8, 1
	s_addc_u32 s3, s9, 0
	s_mul_hi_u32 s8, s21, s7
	s_mul_i32 s3, s12, s3
	s_mul_hi_u32 s9, s12, s2
	s_add_i32 s3, s9, s3
	s_mul_i32 s8, s8, s2
	s_add_i32 s3, s3, s8
	s_mul_i32 s2, s12, s2
	s_lshl_b64 s[2:3], s[2:3], 2
	v_cmp_gt_i64_e32 vcc, s[2:3], v[16:17]
	s_and_saveexec_b64 s[8:9], vcc
	s_cbranch_execz .LBB18_26
; %bb.6:
	s_load_dwordx2 s[8:9], s[4:5], 0x30
	s_load_dword s23, s[4:5], 0x38
	s_load_dwordx2 s[10:11], s[4:5], 0x40
	s_mov_b32 s4, 0x5384540f
	v_mov_b32_e32 v4, v15
	v_add_co_u32_e32 v22, vcc, s4, v14
	s_mov_b32 s4, 0x646e171e
	v_add_co_u32_e32 v23, vcc, s4, v4
	s_mov_b32 s4, 0x1715609d
	;; [unrolled: 2-line block ×6, first 2 shown]
	v_alignbit_b32 v29, v3, v2, 2
	s_mov_b32 s15, 0xd2511f53
	v_add_co_u32_e32 v28, vcc, s4, v14
	v_mad_u64_u32 v[6:7], s[4:5], v29, s15, 0
	v_xor_b32_e32 v1, v7, v15
	v_xor_b32_e32 v1, v1, v17
	s_mov_b32 s16, 0xcd9e8d57
	v_mad_u64_u32 v[8:9], s[4:5], v1, s16, 0
	v_xor_b32_e32 v1, v28, v9
	v_mad_u64_u32 v[10:11], s[4:5], v16, s16, 0
	v_and_b32_e32 v18, 3, v2
	v_xor_b32_e32 v1, v1, v10
	v_xor_b32_e32 v2, v14, v11
	v_lshrrev_b32_e32 v30, 2, v3
	v_mad_u64_u32 v[12:13], s[4:5], v1, s15, 0
	v_xor_b32_e32 v2, v2, v30
	v_xor_b32_e32 v1, v27, v13
	v_mad_u64_u32 v[2:3], s[4:5], v2, s15, 0
	v_xor_b32_e32 v1, v1, v2
	v_mad_u64_u32 v[10:11], s[4:5], v1, s16, 0
	s_mov_b32 s4, 0xbb67ae85
	v_add_co_u32_e32 v31, vcc, s4, v4
	v_xor_b32_e32 v2, v31, v3
	v_xor_b32_e32 v2, v2, v6
	v_xor_b32_e32 v1, v26, v11
	v_mad_u64_u32 v[2:3], s[4:5], v2, s16, 0
	v_xor_b32_e32 v1, v1, v2
	v_mad_u64_u32 v[6:7], s[4:5], v1, s15, 0
	s_mov_b32 s4, 0x3c6ef372
	v_add_co_u32_e32 v32, vcc, s4, v14
	v_xor_b32_e32 v2, v32, v3
	;; [unrolled: 8-line block ×6, first 2 shown]
	v_add_co_u32_e32 v21, vcc, 0xdb3d7428, v4
	v_xor_b32_e32 v2, v2, v8
	v_xor_b32_e32 v1, v21, v7
	v_mad_u64_u32 v[2:3], s[4:5], v2, s15, 0
	v_xor_b32_e32 v1, v1, v2
	v_mad_u64_u32 v[8:9], s[4:5], v1, s16, 0
	s_mov_b32 s4, 0x1fd5c5a3
	v_add_co_u32_e32 v37, vcc, s4, v4
	v_xor_b32_e32 v1, v37, v3
	v_xor_b32_e32 v1, v1, v12
	v_mad_u64_u32 v[2:3], s[4:5], v1, s16, 0
	s_mov_b32 s4, 0xf1bbcdc8
	v_add_u32_e32 v19, 0x8ff34781, v14
	v_xor_b32_e32 v1, v9, v2
	v_add_co_u32_e32 v38, vcc, s4, v14
	v_xor_b32_e32 v2, v19, v1
	v_xor_b32_e32 v1, v38, v3
	;; [unrolled: 1-line block ×3, first 2 shown]
	v_mad_u64_u32 v[10:11], s[4:5], v1, s15, 0
	v_add_u32_e32 v20, 0x96a522ad, v15
	v_xor_b32_e32 v1, v11, v6
	v_xor_b32_e32 v4, v20, v1
	s_waitcnt lgkmcnt(0)
	v_cvt_f32_f64_e32 v1, s[10:11]
	v_mov_b32_e32 v3, v8
	v_sub_f32_e32 v8, 1.0, v1
	v_add_f32_e32 v6, -1.0, v8
	v_sub_f32_e32 v7, v6, v8
	v_add_f32_e32 v7, 1.0, v7
	v_sub_f32_e64 v6, -v1, v6
	v_mov_b32_e32 v5, v10
	v_add_f32_e32 v9, v6, v7
	v_frexp_mant_f32_e32 v10, v8
	s_mov_b32 s4, 0x3f2aaaab
	v_cvt_f64_f32_e32 v[6:7], v8
	v_frexp_exp_i32_f64_e32 v6, v[6:7]
	v_cmp_gt_f32_e32 vcc, s4, v10
	v_subbrev_co_u32_e32 v6, vcc, 0, v6, vcc
	v_sub_u32_e32 v7, 0, v6
	v_ldexp_f32 v8, v8, v7
	v_ldexp_f32 v7, v9, v7
	v_add_f32_e32 v9, -1.0, v8
	v_add_f32_e32 v12, 1.0, v8
	v_add_f32_e32 v10, 1.0, v9
	v_add_f32_e32 v13, -1.0, v12
	v_sub_f32_e32 v10, v8, v10
	v_sub_f32_e32 v8, v8, v13
	v_add_f32_e32 v10, v7, v10
	v_add_f32_e32 v7, v7, v8
	;; [unrolled: 1-line block ×3, first 2 shown]
	v_rcp_f32_e32 v13, v8
	v_add_f32_e32 v11, v9, v10
	v_sub_f32_e32 v9, v11, v9
	v_sub_f32_e32 v9, v10, v9
	;; [unrolled: 1-line block ×4, first 2 shown]
	v_mul_f32_e32 v10, v11, v13
	v_mul_f32_e32 v12, v8, v10
	v_fma_f32 v39, v10, v8, -v12
	v_fmac_f32_e32 v39, v10, v7
	v_add_f32_e32 v40, v12, v39
	v_sub_f32_e32 v41, v11, v40
	v_sub_f32_e32 v11, v11, v41
	;; [unrolled: 1-line block ×4, first 2 shown]
	v_add_f32_e32 v9, v9, v11
	v_sub_f32_e32 v11, v12, v39
	v_add_f32_e32 v9, v11, v9
	v_add_f32_e32 v11, v41, v9
	v_mul_f32_e32 v12, v13, v11
	v_mul_f32_e32 v39, v8, v12
	v_fma_f32 v8, v12, v8, -v39
	v_fmac_f32_e32 v8, v12, v7
	v_sub_f32_e32 v7, v41, v11
	v_add_f32_e32 v7, v9, v7
	v_add_f32_e32 v9, v39, v8
	v_sub_f32_e32 v40, v11, v9
	v_sub_f32_e32 v11, v11, v40
	;; [unrolled: 1-line block ×4, first 2 shown]
	v_add_f32_e32 v7, v7, v9
	v_sub_f32_e32 v8, v39, v8
	v_add_f32_e32 v7, v8, v7
	v_add_f32_e32 v8, v10, v12
	;; [unrolled: 1-line block ×3, first 2 shown]
	v_sub_f32_e32 v9, v8, v10
	v_mul_f32_e32 v7, v13, v7
	v_sub_f32_e32 v9, v12, v9
	v_add_f32_e32 v7, v9, v7
	v_cvt_f32_i32_e32 v6, v6
	v_add_f32_e32 v9, v8, v7
	v_mul_f32_e32 v10, v9, v9
	v_mov_b32_e32 v11, 0x3ecc95a3
	v_fmac_f32_e32 v11, 0x3e9b6dac, v10
	v_mov_b32_e32 v12, 0x3f2aaada
	v_fmac_f32_e32 v12, v10, v11
	s_mov_b32 s4, 0x3f317218
	v_mul_f32_e32 v11, 0x3f317218, v6
	v_fma_f32 v13, v6, s4, -v11
	v_fmac_f32_e32 v13, 0xb102e308, v6
	v_sub_f32_e32 v6, v9, v8
	v_sub_f32_e32 v6, v7, v6
	v_add_f32_e32 v7, v11, v13
	v_sub_f32_e32 v8, v7, v11
	v_ldexp_f32 v11, v9, 1
	v_mul_f32_e32 v9, v9, v10
	v_mul_f32_e32 v9, v9, v12
	v_add_f32_e32 v10, v11, v9
	v_sub_f32_e32 v11, v10, v11
	v_ldexp_f32 v6, v6, 1
	v_sub_f32_e32 v9, v9, v11
	v_add_f32_e32 v6, v6, v9
	v_add_f32_e32 v9, v10, v6
	v_sub_f32_e32 v10, v9, v10
	v_sub_f32_e32 v6, v6, v10
	v_add_f32_e32 v10, v7, v9
	v_sub_f32_e32 v11, v10, v7
	v_sub_f32_e32 v12, v10, v11
	;; [unrolled: 1-line block ×5, first 2 shown]
	v_add_f32_e32 v7, v9, v7
	v_add_f32_e32 v9, v8, v6
	v_sub_f32_e32 v11, v9, v8
	v_sub_f32_e32 v12, v9, v11
	;; [unrolled: 1-line block ×4, first 2 shown]
	v_add_f32_e32 v7, v9, v7
	v_add_f32_e32 v6, v6, v8
	;; [unrolled: 1-line block ×3, first 2 shown]
	v_sub_f32_e32 v9, v8, v10
	v_sub_f32_e32 v7, v7, v9
	v_add_f32_e32 v6, v6, v7
	s_mov_b32 s4, 0xff800000
	v_add_f32_e32 v6, v8, v6
	v_cmp_eq_f32_e32 vcc, s4, v1
	v_cndmask_b32_e64 v6, v6, -v1, vcc
	v_mov_b32_e32 v7, 0x7fc00000
	v_cmp_nlt_f32_e32 vcc, 1.0, v1
	v_cndmask_b32_e32 v6, v7, v6, vcc
	v_mov_b32_e32 v7, 0xff800000
	v_cmp_neq_f32_e32 vcc, 1.0, v1
	s_mov_b32 s4, 0x33800000
	v_cndmask_b32_e32 v6, v7, v6, vcc
	v_cmp_lt_f32_e64 s[4:5], |v1|, s4
	v_cndmask_b32_e64 v39, v6, -v1, s[4:5]
	s_mul_i32 s4, s6, s7
	v_add_u32_e32 v1, s4, v0
	s_mul_i32 s4, s21, s23
	s_mul_i32 s4, s4, s7
	s_lshl_b32 s22, s4, 2
	s_mul_i32 s4, s21, 3
	s_add_i32 s4, s6, s4
	s_mul_i32 s4, s4, s7
	v_mul_lo_u32 v40, s23, v1
	v_add_u32_e32 v1, s4, v0
	s_lshl_b32 s4, s21, 1
	s_add_i32 s4, s6, s4
	s_mul_i32 s4, s4, s7
	v_mul_lo_u32 v41, s23, v1
	v_add_u32_e32 v1, s4, v0
	s_add_i32 s4, s6, s21
	s_mul_i32 s4, s4, s7
	s_mov_b32 s14, 0
	v_add_u32_e32 v0, s4, v0
	s_lshl_b32 s17, s12, 1
	s_mov_b32 s18, s14
	s_mul_i32 s19, s12, 3
	s_mov_b32 s20, s14
	v_mul_lo_u32 v42, s23, v1
	v_mul_lo_u32 v43, s23, v0
	s_mov_b64 s[4:5], 0
	s_mov_b32 s21, 0x800000
	s_mov_b32 s23, 0x3f317217
	;; [unrolled: 1-line block ×3, first 2 shown]
	v_mov_b32_e32 v44, 0x4f800000
	v_mov_b32_e32 v45, 0x41b17218
	s_mov_b32 s25, s14
	v_mov_b32_e32 v46, v16
	v_mov_b32_e32 v47, v17
	s_branch .LBB18_8
.LBB18_7:                               ;   in Loop: Header=BB18_8 Depth=1
	s_or_b64 exec, exec, s[6:7]
	v_add_co_u32_e32 v16, vcc, s13, v16
	v_addc_co_u32_e32 v17, vcc, 0, v17, vcc
	v_mov_b32_e32 v9, v0
	s_add_i32 s25, s25, s22
	v_cmp_le_i64_e32 vcc, s[2:3], v[16:17]
	v_pk_mov_b32 v[2:3], v[6:7], v[6:7] op_sel:[0,1]
	s_or_b64 s[4:5], vcc, s[4:5]
	v_pk_mov_b32 v[4:5], v[8:9], v[8:9] op_sel:[0,1]
	s_barrier
	s_andn2_b64 exec, exec, s[4:5]
	s_cbranch_execz .LBB18_26
.LBB18_8:                               ; =>This Inner Loop Header: Depth=1
	v_add_co_u32_e32 v29, vcc, 1, v29
	v_cndmask_b32_e64 v0, 0, 1, vcc
	v_addc_co_u32_e32 v30, vcc, 0, v30, vcc
	v_cmp_eq_u32_e32 vcc, 0, v30
	v_cndmask_b32_e32 v0, 0, v0, vcc
	v_add_u32_e32 v46, v0, v46
	v_cmp_eq_u32_e32 vcc, 0, v46
	v_cndmask_b32_e32 v0, 0, v0, vcc
	v_add_u32_e32 v47, v0, v47
	v_mad_u64_u32 v[0:1], s[6:7], v29, s15, 0
	v_mad_u64_u32 v[6:7], s[6:7], v46, s16, 0
	v_xor_b32_e32 v1, v1, v15
	v_xor_b32_e32 v7, v7, v14
	v_xor_b32_e32 v1, v47, v1
	v_xor_b32_e32 v7, v30, v7
	v_mad_u64_u32 v[10:11], s[6:7], v1, s16, 0
	v_mad_u64_u32 v[8:9], s[6:7], v7, s15, 0
	v_xor_b32_e32 v1, v28, v11
	v_xor_b32_e32 v1, v1, v6
	v_xor_b32_e32 v6, v31, v9
	v_xor_b32_e32 v6, v6, v0
	;; [unrolled: 6-line block ×10, first 2 shown]
	v_mov_b32_e32 v7, v12
	v_mov_b32_e32 v8, v13
	v_cmp_lt_i32_e32 vcc, 1, v18
	s_and_saveexec_b64 s[6:7], vcc
	s_xor_b64 s[6:7], exec, s[6:7]
	s_cbranch_execnz .LBB18_18
; %bb.9:                                ;   in Loop: Header=BB18_8 Depth=1
	s_andn2_saveexec_b64 s[6:7], s[6:7]
	s_cbranch_execnz .LBB18_23
.LBB18_10:                              ;   in Loop: Header=BB18_8 Depth=1
	s_or_b64 exec, exec, s[6:7]
	v_cmp_gt_i64_e32 vcc, s[0:1], v[16:17]
	s_and_saveexec_b64 s[6:7], vcc
	s_cbranch_execz .LBB18_12
.LBB18_11:                              ;   in Loop: Header=BB18_8 Depth=1
	v_cvt_f32_u32_e32 v1, v2
	v_mov_b32_e32 v2, 0x2f800000
	v_mov_b32_e32 v11, s9
	v_fmac_f32_e32 v2, 0x2f800000, v1
	v_cmp_gt_f32_e32 vcc, s21, v2
	v_cndmask_b32_e32 v1, 1.0, v44, vcc
	v_mul_f32_e32 v1, v2, v1
	v_log_f32_e32 v1, v1
	v_cndmask_b32_e32 v2, 0, v45, vcc
	v_mul_f32_e32 v9, 0x3f317217, v1
	v_fma_f32 v10, v1, s23, -v9
	v_fmac_f32_e32 v10, 0x3377d1cf, v1
	v_add_f32_e32 v9, v9, v10
	v_cmp_lt_f32_e64 vcc, |v1|, s24
	v_cndmask_b32_e32 v1, v1, v9, vcc
	v_sub_f32_e32 v1, v1, v2
	v_div_scale_f32 v2, s[10:11], v39, v39, v1
	v_rcp_f32_e32 v9, v2
	v_add_u32_e32 v10, s25, v40
	v_ashrrev_i32_e32 v12, 31, v10
	v_fma_f32 v13, -v2, v9, 1.0
	v_fmac_f32_e32 v9, v13, v9
	v_div_scale_f32 v13, vcc, v1, v39, v1
	v_mul_f32_e32 v48, v13, v9
	v_fma_f32 v49, -v2, v48, v13
	v_fmac_f32_e32 v48, v49, v9
	v_fma_f32 v2, -v2, v48, v13
	v_div_fmas_f32 v2, v2, v9, v48
	v_div_fixup_f32 v1, v2, v39, v1
	v_ceil_f32_e32 v1, v1
	v_cvt_i32_f32_e32 v1, v1
	v_add_co_u32_e32 v10, vcc, s8, v10
	v_addc_co_u32_e32 v11, vcc, v11, v12, vcc
	global_store_short v[10:11], v1, off
.LBB18_12:                              ;   in Loop: Header=BB18_8 Depth=1
	s_or_b64 exec, exec, s[6:7]
	v_mov_b32_e32 v1, s14
	v_add_co_u32_e32 v10, vcc, s12, v16
	v_addc_co_u32_e32 v11, vcc, v1, v17, vcc
	v_cmp_gt_i64_e32 vcc, s[0:1], v[10:11]
	s_and_saveexec_b64 s[6:7], vcc
	s_cbranch_execz .LBB18_14
; %bb.13:                               ;   in Loop: Header=BB18_8 Depth=1
	v_cvt_f32_u32_e32 v1, v3
	v_mov_b32_e32 v2, 0x2f800000
	v_mov_b32_e32 v10, s9
	v_fmac_f32_e32 v2, 0x2f800000, v1
	v_cmp_gt_f32_e32 vcc, s21, v2
	v_cndmask_b32_e32 v1, 1.0, v44, vcc
	v_mul_f32_e32 v1, v2, v1
	v_log_f32_e32 v1, v1
	v_cndmask_b32_e32 v2, 0, v45, vcc
	v_mul_f32_e32 v3, 0x3f317217, v1
	v_fma_f32 v9, v1, s23, -v3
	v_fmac_f32_e32 v9, 0x3377d1cf, v1
	v_add_f32_e32 v3, v3, v9
	v_cmp_lt_f32_e64 vcc, |v1|, s24
	v_cndmask_b32_e32 v1, v1, v3, vcc
	v_sub_f32_e32 v1, v1, v2
	v_div_scale_f32 v2, s[10:11], v39, v39, v1
	v_rcp_f32_e32 v3, v2
	v_add_u32_e32 v9, s25, v43
	v_ashrrev_i32_e32 v11, 31, v9
	v_fma_f32 v12, -v2, v3, 1.0
	v_fmac_f32_e32 v3, v12, v3
	v_div_scale_f32 v12, vcc, v1, v39, v1
	v_mul_f32_e32 v13, v12, v3
	v_fma_f32 v48, -v2, v13, v12
	v_fmac_f32_e32 v13, v48, v3
	v_fma_f32 v2, -v2, v13, v12
	v_div_fmas_f32 v2, v2, v3, v13
	v_div_fixup_f32 v1, v2, v39, v1
	v_ceil_f32_e32 v1, v1
	v_cvt_i32_f32_e32 v1, v1
	v_add_co_u32_e32 v2, vcc, s8, v9
	v_addc_co_u32_e32 v3, vcc, v10, v11, vcc
	global_store_short v[2:3], v1, off
.LBB18_14:                              ;   in Loop: Header=BB18_8 Depth=1
	s_or_b64 exec, exec, s[6:7]
	v_mov_b32_e32 v1, s18
	v_add_co_u32_e32 v2, vcc, s17, v16
	v_addc_co_u32_e32 v3, vcc, v1, v17, vcc
	v_cmp_gt_i64_e32 vcc, s[0:1], v[2:3]
	s_and_saveexec_b64 s[6:7], vcc
	s_cbranch_execz .LBB18_16
; %bb.15:                               ;   in Loop: Header=BB18_8 Depth=1
	v_cvt_f32_u32_e32 v1, v4
	v_mov_b32_e32 v2, 0x2f800000
	v_mov_b32_e32 v9, s9
	v_fmac_f32_e32 v2, 0x2f800000, v1
	v_cmp_gt_f32_e32 vcc, s21, v2
	v_cndmask_b32_e32 v1, 1.0, v44, vcc
	v_mul_f32_e32 v1, v2, v1
	v_log_f32_e32 v1, v1
	v_cndmask_b32_e32 v2, 0, v45, vcc
	v_mul_f32_e32 v3, 0x3f317217, v1
	v_fma_f32 v4, v1, s23, -v3
	v_fmac_f32_e32 v4, 0x3377d1cf, v1
	v_add_f32_e32 v3, v3, v4
	v_cmp_lt_f32_e64 vcc, |v1|, s24
	v_cndmask_b32_e32 v1, v1, v3, vcc
	v_sub_f32_e32 v1, v1, v2
	v_div_scale_f32 v2, s[10:11], v39, v39, v1
	v_rcp_f32_e32 v3, v2
	v_add_u32_e32 v4, s25, v42
	v_ashrrev_i32_e32 v10, 31, v4
	v_fma_f32 v11, -v2, v3, 1.0
	v_fmac_f32_e32 v3, v11, v3
	v_div_scale_f32 v11, vcc, v1, v39, v1
	v_mul_f32_e32 v12, v11, v3
	v_fma_f32 v13, -v2, v12, v11
	v_fmac_f32_e32 v12, v13, v3
	v_fma_f32 v2, -v2, v12, v11
	v_div_fmas_f32 v2, v2, v3, v12
	v_div_fixup_f32 v1, v2, v39, v1
	v_ceil_f32_e32 v1, v1
	v_cvt_i32_f32_e32 v1, v1
	v_add_co_u32_e32 v2, vcc, s8, v4
	v_addc_co_u32_e32 v3, vcc, v9, v10, vcc
	global_store_short v[2:3], v1, off
.LBB18_16:                              ;   in Loop: Header=BB18_8 Depth=1
	s_or_b64 exec, exec, s[6:7]
	v_mov_b32_e32 v1, s20
	v_add_co_u32_e32 v2, vcc, s19, v16
	v_addc_co_u32_e32 v3, vcc, v1, v17, vcc
	v_cmp_gt_i64_e32 vcc, s[0:1], v[2:3]
	s_and_saveexec_b64 s[6:7], vcc
	s_cbranch_execz .LBB18_7
; %bb.17:                               ;   in Loop: Header=BB18_8 Depth=1
	v_cvt_f32_u32_e32 v1, v5
	v_mov_b32_e32 v2, 0x2f800000
	v_mov_b32_e32 v5, s9
	v_fmac_f32_e32 v2, 0x2f800000, v1
	v_cmp_gt_f32_e32 vcc, s21, v2
	v_cndmask_b32_e32 v1, 1.0, v44, vcc
	v_mul_f32_e32 v1, v2, v1
	v_log_f32_e32 v1, v1
	v_cndmask_b32_e32 v2, 0, v45, vcc
	v_mul_f32_e32 v3, 0x3f317217, v1
	v_fma_f32 v4, v1, s23, -v3
	v_fmac_f32_e32 v4, 0x3377d1cf, v1
	v_add_f32_e32 v3, v3, v4
	v_cmp_lt_f32_e64 vcc, |v1|, s24
	v_cndmask_b32_e32 v1, v1, v3, vcc
	v_sub_f32_e32 v1, v1, v2
	v_div_scale_f32 v2, s[10:11], v39, v39, v1
	v_rcp_f32_e32 v3, v2
	v_add_u32_e32 v4, s25, v41
	v_ashrrev_i32_e32 v9, 31, v4
	v_fma_f32 v10, -v2, v3, 1.0
	v_fmac_f32_e32 v3, v10, v3
	v_div_scale_f32 v10, vcc, v1, v39, v1
	v_mul_f32_e32 v11, v10, v3
	v_fma_f32 v12, -v2, v11, v10
	v_fmac_f32_e32 v11, v12, v3
	v_fma_f32 v2, -v2, v11, v10
	v_div_fmas_f32 v2, v2, v3, v11
	v_div_fixup_f32 v1, v2, v39, v1
	v_ceil_f32_e32 v1, v1
	v_cvt_i32_f32_e32 v1, v1
	v_add_co_u32_e32 v2, vcc, s8, v4
	v_addc_co_u32_e32 v3, vcc, v5, v9, vcc
	global_store_short v[2:3], v1, off
	s_branch .LBB18_7
.LBB18_18:                              ;   in Loop: Header=BB18_8 Depth=1
	v_cmp_lt_i32_e32 vcc, 2, v18
	s_and_saveexec_b64 s[10:11], vcc
	s_xor_b64 s[10:11], exec, s[10:11]
; %bb.19:                               ;   in Loop: Header=BB18_8 Depth=1
	v_mov_b32_e32 v10, v5
	v_mov_b32_e32 v11, v6
	v_pk_mov_b32 v[2:3], v[10:11], v[10:11] op_sel:[0,1]
	v_pk_mov_b32 v[4:5], v[12:13], v[12:13] op_sel:[0,1]
                                        ; implicit-def: $vgpr12_vgpr13
; %bb.20:                               ;   in Loop: Header=BB18_8 Depth=1
	s_andn2_saveexec_b64 s[10:11], s[10:11]
; %bb.21:                               ;   in Loop: Header=BB18_8 Depth=1
	v_mov_b32_e32 v2, v4
	v_mov_b32_e32 v3, v5
	;; [unrolled: 1-line block ×4, first 2 shown]
; %bb.22:                               ;   in Loop: Header=BB18_8 Depth=1
	s_or_b64 exec, exec, s[10:11]
	s_andn2_saveexec_b64 s[6:7], s[6:7]
	s_cbranch_execz .LBB18_10
.LBB18_23:                              ;   in Loop: Header=BB18_8 Depth=1
	v_cmp_eq_u32_e32 vcc, 1, v18
	s_and_saveexec_b64 s[10:11], vcc
; %bb.24:                               ;   in Loop: Header=BB18_8 Depth=1
	v_mov_b32_e32 v2, v3
	v_mov_b32_e32 v3, v4
	;; [unrolled: 1-line block ×4, first 2 shown]
; %bb.25:                               ;   in Loop: Header=BB18_8 Depth=1
	s_or_b64 exec, exec, s[10:11]
	s_or_b64 exec, exec, s[6:7]
	v_cmp_gt_i64_e32 vcc, s[0:1], v[16:17]
	s_and_saveexec_b64 s[6:7], vcc
	s_cbranch_execnz .LBB18_11
	s_branch .LBB18_12
.LBB18_26:
	s_endpgm
.LBB18_27:
                                        ; implicit-def: $sgpr8_sgpr9
	s_andn2_b64 vcc, exec, s[2:3]
	s_cbranch_vccz .LBB18_4
	s_branch .LBB18_5
	.section	.rodata,"a",@progbits
	.p2align	6, 0x0
	.amdhsa_kernel _ZN2at6native12_GLOBAL__N_143distribution_elementwise_grid_stride_kernelIfLi4EZNS0_9templates4cuda21uniform_and_transformIsfPNS_17CUDAGeneratorImplEZZZNS4_16geometric_kernelIS7_EEvRNS_18TensorIteratorBaseEdT_ENKUlvE_clEvENKUlvE3_clEvEUlfE_EEvSA_T1_T2_EUlP25hiprandStatePhilox4_32_10E0_ZNS1_27distribution_nullary_kernelIsf15HIP_vector_typeIfLj4EES7_SJ_SE_EEvSA_SG_RKT3_T4_EUlifE_EEvlNS_15PhiloxCudaStateESF_SG_
		.amdhsa_group_segment_fixed_size 0
		.amdhsa_private_segment_fixed_size 0
		.amdhsa_kernarg_size 328
		.amdhsa_user_sgpr_count 6
		.amdhsa_user_sgpr_private_segment_buffer 1
		.amdhsa_user_sgpr_dispatch_ptr 0
		.amdhsa_user_sgpr_queue_ptr 0
		.amdhsa_user_sgpr_kernarg_segment_ptr 1
		.amdhsa_user_sgpr_dispatch_id 0
		.amdhsa_user_sgpr_flat_scratch_init 0
		.amdhsa_user_sgpr_kernarg_preload_length 0
		.amdhsa_user_sgpr_kernarg_preload_offset 0
		.amdhsa_user_sgpr_private_segment_size 0
		.amdhsa_uses_dynamic_stack 0
		.amdhsa_system_sgpr_private_segment_wavefront_offset 0
		.amdhsa_system_sgpr_workgroup_id_x 1
		.amdhsa_system_sgpr_workgroup_id_y 0
		.amdhsa_system_sgpr_workgroup_id_z 0
		.amdhsa_system_sgpr_workgroup_info 0
		.amdhsa_system_vgpr_workitem_id 0
		.amdhsa_next_free_vgpr 50
		.amdhsa_next_free_sgpr 26
		.amdhsa_accum_offset 52
		.amdhsa_reserve_vcc 1
		.amdhsa_reserve_flat_scratch 0
		.amdhsa_float_round_mode_32 0
		.amdhsa_float_round_mode_16_64 0
		.amdhsa_float_denorm_mode_32 3
		.amdhsa_float_denorm_mode_16_64 3
		.amdhsa_dx10_clamp 1
		.amdhsa_ieee_mode 1
		.amdhsa_fp16_overflow 0
		.amdhsa_tg_split 0
		.amdhsa_exception_fp_ieee_invalid_op 0
		.amdhsa_exception_fp_denorm_src 0
		.amdhsa_exception_fp_ieee_div_zero 0
		.amdhsa_exception_fp_ieee_overflow 0
		.amdhsa_exception_fp_ieee_underflow 0
		.amdhsa_exception_fp_ieee_inexact 0
		.amdhsa_exception_int_div_zero 0
	.end_amdhsa_kernel
	.section	.text._ZN2at6native12_GLOBAL__N_143distribution_elementwise_grid_stride_kernelIfLi4EZNS0_9templates4cuda21uniform_and_transformIsfPNS_17CUDAGeneratorImplEZZZNS4_16geometric_kernelIS7_EEvRNS_18TensorIteratorBaseEdT_ENKUlvE_clEvENKUlvE3_clEvEUlfE_EEvSA_T1_T2_EUlP25hiprandStatePhilox4_32_10E0_ZNS1_27distribution_nullary_kernelIsf15HIP_vector_typeIfLj4EES7_SJ_SE_EEvSA_SG_RKT3_T4_EUlifE_EEvlNS_15PhiloxCudaStateESF_SG_,"axG",@progbits,_ZN2at6native12_GLOBAL__N_143distribution_elementwise_grid_stride_kernelIfLi4EZNS0_9templates4cuda21uniform_and_transformIsfPNS_17CUDAGeneratorImplEZZZNS4_16geometric_kernelIS7_EEvRNS_18TensorIteratorBaseEdT_ENKUlvE_clEvENKUlvE3_clEvEUlfE_EEvSA_T1_T2_EUlP25hiprandStatePhilox4_32_10E0_ZNS1_27distribution_nullary_kernelIsf15HIP_vector_typeIfLj4EES7_SJ_SE_EEvSA_SG_RKT3_T4_EUlifE_EEvlNS_15PhiloxCudaStateESF_SG_,comdat
.Lfunc_end18:
	.size	_ZN2at6native12_GLOBAL__N_143distribution_elementwise_grid_stride_kernelIfLi4EZNS0_9templates4cuda21uniform_and_transformIsfPNS_17CUDAGeneratorImplEZZZNS4_16geometric_kernelIS7_EEvRNS_18TensorIteratorBaseEdT_ENKUlvE_clEvENKUlvE3_clEvEUlfE_EEvSA_T1_T2_EUlP25hiprandStatePhilox4_32_10E0_ZNS1_27distribution_nullary_kernelIsf15HIP_vector_typeIfLj4EES7_SJ_SE_EEvSA_SG_RKT3_T4_EUlifE_EEvlNS_15PhiloxCudaStateESF_SG_, .Lfunc_end18-_ZN2at6native12_GLOBAL__N_143distribution_elementwise_grid_stride_kernelIfLi4EZNS0_9templates4cuda21uniform_and_transformIsfPNS_17CUDAGeneratorImplEZZZNS4_16geometric_kernelIS7_EEvRNS_18TensorIteratorBaseEdT_ENKUlvE_clEvENKUlvE3_clEvEUlfE_EEvSA_T1_T2_EUlP25hiprandStatePhilox4_32_10E0_ZNS1_27distribution_nullary_kernelIsf15HIP_vector_typeIfLj4EES7_SJ_SE_EEvSA_SG_RKT3_T4_EUlifE_EEvlNS_15PhiloxCudaStateESF_SG_
                                        ; -- End function
	.section	.AMDGPU.csdata,"",@progbits
; Kernel info:
; codeLenInByte = 3612
; NumSgprs: 30
; NumVgprs: 50
; NumAgprs: 0
; TotalNumVgprs: 50
; ScratchSize: 0
; MemoryBound: 0
; FloatMode: 240
; IeeeMode: 1
; LDSByteSize: 0 bytes/workgroup (compile time only)
; SGPRBlocks: 3
; VGPRBlocks: 6
; NumSGPRsForWavesPerEU: 30
; NumVGPRsForWavesPerEU: 50
; AccumOffset: 52
; Occupancy: 8
; WaveLimiterHint : 0
; COMPUTE_PGM_RSRC2:SCRATCH_EN: 0
; COMPUTE_PGM_RSRC2:USER_SGPR: 6
; COMPUTE_PGM_RSRC2:TRAP_HANDLER: 0
; COMPUTE_PGM_RSRC2:TGID_X_EN: 1
; COMPUTE_PGM_RSRC2:TGID_Y_EN: 0
; COMPUTE_PGM_RSRC2:TGID_Z_EN: 0
; COMPUTE_PGM_RSRC2:TIDIG_COMP_CNT: 0
; COMPUTE_PGM_RSRC3_GFX90A:ACCUM_OFFSET: 12
; COMPUTE_PGM_RSRC3_GFX90A:TG_SPLIT: 0
	.section	.text._ZN2at6native12_GLOBAL__N_143distribution_elementwise_grid_stride_kernelIfLi4EZNS0_9templates4cuda21uniform_and_transformIsfPNS_17CUDAGeneratorImplEZZZNS4_16geometric_kernelIS7_EEvRNS_18TensorIteratorBaseEdT_ENKUlvE_clEvENKUlvE3_clEvEUlfE_EEvSA_T1_T2_EUlP25hiprandStatePhilox4_32_10E0_ZNS1_27distribution_nullary_kernelIsf15HIP_vector_typeIfLj4EES7_SJ_SE_EEvSA_SG_RKT3_T4_EUlifE0_EEvlNS_15PhiloxCudaStateESF_SG_,"axG",@progbits,_ZN2at6native12_GLOBAL__N_143distribution_elementwise_grid_stride_kernelIfLi4EZNS0_9templates4cuda21uniform_and_transformIsfPNS_17CUDAGeneratorImplEZZZNS4_16geometric_kernelIS7_EEvRNS_18TensorIteratorBaseEdT_ENKUlvE_clEvENKUlvE3_clEvEUlfE_EEvSA_T1_T2_EUlP25hiprandStatePhilox4_32_10E0_ZNS1_27distribution_nullary_kernelIsf15HIP_vector_typeIfLj4EES7_SJ_SE_EEvSA_SG_RKT3_T4_EUlifE0_EEvlNS_15PhiloxCudaStateESF_SG_,comdat
	.globl	_ZN2at6native12_GLOBAL__N_143distribution_elementwise_grid_stride_kernelIfLi4EZNS0_9templates4cuda21uniform_and_transformIsfPNS_17CUDAGeneratorImplEZZZNS4_16geometric_kernelIS7_EEvRNS_18TensorIteratorBaseEdT_ENKUlvE_clEvENKUlvE3_clEvEUlfE_EEvSA_T1_T2_EUlP25hiprandStatePhilox4_32_10E0_ZNS1_27distribution_nullary_kernelIsf15HIP_vector_typeIfLj4EES7_SJ_SE_EEvSA_SG_RKT3_T4_EUlifE0_EEvlNS_15PhiloxCudaStateESF_SG_ ; -- Begin function _ZN2at6native12_GLOBAL__N_143distribution_elementwise_grid_stride_kernelIfLi4EZNS0_9templates4cuda21uniform_and_transformIsfPNS_17CUDAGeneratorImplEZZZNS4_16geometric_kernelIS7_EEvRNS_18TensorIteratorBaseEdT_ENKUlvE_clEvENKUlvE3_clEvEUlfE_EEvSA_T1_T2_EUlP25hiprandStatePhilox4_32_10E0_ZNS1_27distribution_nullary_kernelIsf15HIP_vector_typeIfLj4EES7_SJ_SE_EEvSA_SG_RKT3_T4_EUlifE0_EEvlNS_15PhiloxCudaStateESF_SG_
	.p2align	8
	.type	_ZN2at6native12_GLOBAL__N_143distribution_elementwise_grid_stride_kernelIfLi4EZNS0_9templates4cuda21uniform_and_transformIsfPNS_17CUDAGeneratorImplEZZZNS4_16geometric_kernelIS7_EEvRNS_18TensorIteratorBaseEdT_ENKUlvE_clEvENKUlvE3_clEvEUlfE_EEvSA_T1_T2_EUlP25hiprandStatePhilox4_32_10E0_ZNS1_27distribution_nullary_kernelIsf15HIP_vector_typeIfLj4EES7_SJ_SE_EEvSA_SG_RKT3_T4_EUlifE0_EEvlNS_15PhiloxCudaStateESF_SG_,@function
_ZN2at6native12_GLOBAL__N_143distribution_elementwise_grid_stride_kernelIfLi4EZNS0_9templates4cuda21uniform_and_transformIsfPNS_17CUDAGeneratorImplEZZZNS4_16geometric_kernelIS7_EEvRNS_18TensorIteratorBaseEdT_ENKUlvE_clEvENKUlvE3_clEvEUlfE_EEvSA_T1_T2_EUlP25hiprandStatePhilox4_32_10E0_ZNS1_27distribution_nullary_kernelIsf15HIP_vector_typeIfLj4EES7_SJ_SE_EEvSA_SG_RKT3_T4_EUlifE0_EEvlNS_15PhiloxCudaStateESF_SG_: ; @_ZN2at6native12_GLOBAL__N_143distribution_elementwise_grid_stride_kernelIfLi4EZNS0_9templates4cuda21uniform_and_transformIsfPNS_17CUDAGeneratorImplEZZZNS4_16geometric_kernelIS7_EEvRNS_18TensorIteratorBaseEdT_ENKUlvE_clEvENKUlvE3_clEvEUlfE_EEvSA_T1_T2_EUlP25hiprandStatePhilox4_32_10E0_ZNS1_27distribution_nullary_kernelIsf15HIP_vector_typeIfLj4EES7_SJ_SE_EEvSA_SG_RKT3_T4_EUlifE0_EEvlNS_15PhiloxCudaStateESF_SG_
; %bb.0:
	s_load_dword s2, s[4:5], 0x20
	s_load_dwordx2 s[0:1], s[4:5], 0x10
	s_load_dwordx4 s[24:27], s[4:5], 0x0
	s_waitcnt lgkmcnt(0)
	s_bitcmp0_b32 s2, 0
	s_mov_b32 s2, 0
	v_pk_mov_b32 v[2:3], s[0:1], s[0:1] op_sel:[0,1]
	v_pk_mov_b32 v[12:13], s[26:27], s[26:27] op_sel:[0,1]
	s_cbranch_scc1 .LBB19_2
; %bb.1:
	v_pk_mov_b32 v[2:3], s[0:1], s[0:1] op_sel:[0,1]
	flat_load_dwordx2 v[2:3], v[2:3]
	v_pk_mov_b32 v[4:5], s[26:27], s[26:27] op_sel:[0,1]
	flat_load_dwordx2 v[12:13], v[4:5]
	s_load_dwordx2 s[0:1], s[4:5], 0x18
	s_waitcnt lgkmcnt(0)
	v_mov_b32_e32 v1, s1
	s_waitcnt vmcnt(0)
	v_add_co_u32_e32 v2, vcc, s0, v2
	v_addc_co_u32_e32 v3, vcc, v3, v1, vcc
.LBB19_2:
	s_load_dword s0, s[4:5], 0x154
	s_load_dword s7, s[4:5], 0x148
	s_waitcnt lgkmcnt(0)
	s_and_b32 s8, s0, 0xffff
	s_add_u32 s9, s24, -1
	s_mul_i32 s33, s7, s8
	s_addc_u32 s3, s25, -1
	s_lshl_b32 s58, s33, 2
	s_cmp_lg_u64 s[2:3], 0
	s_mov_b64 s[0:1], -1
	s_cbranch_scc0 .LBB19_83
; %bb.3:
	v_cvt_f32_u32_e32 v1, s58
	v_cvt_f32_ubyte0_e32 v4, 0
	s_sub_u32 s2, 0, s58
	s_subb_u32 s10, 0, 0
	v_madmk_f32 v1, v4, 0x4f800000, v1
	v_rcp_f32_e32 v1, v1
	v_mul_f32_e32 v1, 0x5f7ffffc, v1
	v_mul_f32_e32 v4, 0x2f800000, v1
	v_trunc_f32_e32 v4, v4
	v_madmk_f32 v1, v4, 0xcf800000, v1
	v_cvt_u32_f32_e32 v4, v4
	v_cvt_u32_f32_e32 v1, v1
	v_readfirstlane_b32 s11, v4
	v_readfirstlane_b32 s12, v1
	s_mul_i32 s13, s2, s11
	s_mul_hi_u32 s15, s2, s12
	s_mul_i32 s14, s10, s12
	s_add_i32 s13, s15, s13
	s_add_i32 s13, s13, s14
	s_mul_i32 s16, s2, s12
	s_mul_hi_u32 s14, s12, s13
	s_mul_i32 s15, s12, s13
	s_mul_hi_u32 s12, s12, s16
	s_add_u32 s12, s12, s15
	s_addc_u32 s14, 0, s14
	s_mul_hi_u32 s17, s11, s16
	s_mul_i32 s16, s11, s16
	s_add_u32 s12, s12, s16
	s_mul_hi_u32 s15, s11, s13
	s_addc_u32 s12, s14, s17
	s_addc_u32 s14, s15, 0
	s_mul_i32 s13, s11, s13
	s_add_u32 s12, s12, s13
	s_addc_u32 s13, 0, s14
	v_add_co_u32_e32 v1, vcc, s12, v1
	s_cmp_lg_u64 vcc, 0
	s_addc_u32 s11, s11, s13
	v_readfirstlane_b32 s13, v1
	s_mul_i32 s12, s2, s11
	s_mul_hi_u32 s14, s2, s13
	s_add_i32 s12, s14, s12
	s_mul_i32 s10, s10, s13
	s_add_i32 s12, s12, s10
	s_mul_i32 s2, s2, s13
	s_mul_hi_u32 s14, s11, s2
	s_mul_i32 s15, s11, s2
	s_mul_i32 s17, s13, s12
	s_mul_hi_u32 s2, s13, s2
	s_mul_hi_u32 s16, s13, s12
	s_add_u32 s2, s2, s17
	s_addc_u32 s13, 0, s16
	s_add_u32 s2, s2, s15
	s_mul_hi_u32 s10, s11, s12
	s_addc_u32 s2, s13, s14
	s_addc_u32 s10, s10, 0
	s_mul_i32 s12, s11, s12
	s_add_u32 s2, s2, s12
	s_addc_u32 s10, 0, s10
	v_add_co_u32_e32 v1, vcc, s2, v1
	s_cmp_lg_u64 vcc, 0
	s_addc_u32 s12, s11, s10
	s_ashr_i32 s10, s3, 31
	s_add_u32 s2, s9, s10
	s_mov_b32 s11, s10
	s_addc_u32 s3, s3, s10
	s_xor_b64 s[2:3], s[2:3], s[10:11]
	v_readfirstlane_b32 s15, v1
	s_mul_i32 s14, s2, s12
	s_mul_hi_u32 s16, s2, s15
	s_mul_hi_u32 s13, s2, s12
	s_add_u32 s14, s16, s14
	s_addc_u32 s13, 0, s13
	s_mul_hi_u32 s17, s3, s15
	s_mul_i32 s15, s3, s15
	s_add_u32 s14, s14, s15
	s_mul_hi_u32 s16, s3, s12
	s_addc_u32 s13, s13, s17
	s_addc_u32 s14, s16, 0
	s_mul_i32 s12, s3, s12
	s_add_u32 s12, s13, s12
	s_addc_u32 s13, 0, s14
	s_add_u32 s14, s12, 1
	s_addc_u32 s15, s13, 0
	s_add_u32 s16, s12, 2
	s_mul_i32 s18, s58, s13
	s_mul_hi_u32 s19, s58, s12
	s_addc_u32 s17, s13, 0
	s_add_i32 s19, s19, s18
	s_mul_i32 s18, s58, s12
	v_mov_b32_e32 v1, s18
	v_sub_co_u32_e32 v1, vcc, s2, v1
	s_cmp_lg_u64 vcc, 0
	s_subb_u32 s2, s3, s19
	v_subrev_co_u32_e32 v4, vcc, s58, v1
	s_cmp_lg_u64 vcc, 0
	s_subb_u32 s3, s2, 0
	v_readfirstlane_b32 s18, v4
	s_cmp_ge_u32 s18, s58
	s_cselect_b32 s18, -1, 0
	s_cmp_eq_u32 s3, 0
	s_cselect_b32 s3, s18, -1
	s_cmp_lg_u32 s3, 0
	s_cselect_b32 s3, s17, s15
	v_readfirstlane_b32 s15, v1
	s_cselect_b32 s14, s16, s14
	s_cmp_ge_u32 s15, s58
	s_cselect_b32 s15, -1, 0
	s_cmp_eq_u32 s2, 0
	s_cselect_b32 s2, s15, -1
	s_cmp_lg_u32 s2, 0
	s_cselect_b32 s3, s3, s13
	s_cselect_b32 s2, s14, s12
	s_xor_b64 s[2:3], s[2:3], s[10:11]
	s_sub_u32 s2, s2, s10
	s_subb_u32 s3, s3, s10
	s_cbranch_execnz .LBB19_5
.LBB19_4:
	v_cvt_f32_u32_e32 v1, s58
	s_sub_i32 s0, 0, s58
	s_mov_b32 s3, 0
	v_rcp_iflag_f32_e32 v1, v1
	v_mul_f32_e32 v1, 0x4f7ffffe, v1
	v_cvt_u32_f32_e32 v1, v1
	v_readfirstlane_b32 s1, v1
	s_mul_i32 s0, s0, s1
	s_mul_hi_u32 s0, s1, s0
	s_add_i32 s1, s1, s0
	s_mul_hi_u32 s0, s9, s1
	s_mul_i32 s2, s0, s58
	s_sub_i32 s2, s9, s2
	s_add_i32 s1, s0, 1
	s_sub_i32 s9, s2, s58
	s_cmp_ge_u32 s2, s58
	s_cselect_b32 s0, s1, s0
	s_cselect_b32 s2, s9, s2
	s_add_i32 s1, s0, 1
	s_cmp_ge_u32 s2, s58
	s_cselect_b32 s2, s1, s0
.LBB19_5:
	v_mov_b32_e32 v1, 0
	v_mov_b32_e32 v4, s6
	v_mad_u64_u32 v[14:15], s[0:1], s8, v4, v[0:1]
	s_add_u32 s0, s2, 1
	s_addc_u32 s1, s3, 0
	s_mul_hi_u32 s2, s7, s8
	s_mul_i32 s1, s33, s1
	s_mul_hi_u32 s3, s33, s0
	s_add_i32 s1, s3, s1
	s_mul_i32 s2, s2, s0
	s_add_i32 s1, s1, s2
	s_mul_i32 s0, s33, s0
	s_lshl_b64 s[26:27], s[0:1], 2
	v_cmp_gt_i64_e32 vcc, s[26:27], v[14:15]
	s_and_saveexec_b64 s[0:1], vcc
	s_cbranch_execz .LBB19_82
; %bb.6:
	s_mov_b32 s0, 0x5384540f
	v_mov_b32_e32 v0, v13
	v_add_co_u32_e32 v22, vcc, s0, v12
	s_mov_b32 s0, 0x646e171e
	v_add_co_u32_e32 v23, vcc, s0, v0
	s_mov_b32 s0, 0x1715609d
	;; [unrolled: 2-line block ×6, first 2 shown]
	v_alignbit_b32 v29, v3, v2, 2
	s_mov_b32 s60, 0xd2511f53
	v_add_co_u32_e32 v28, vcc, s0, v12
	v_mad_u64_u32 v[4:5], s[0:1], v29, s60, 0
	v_xor_b32_e32 v1, v5, v13
	v_xor_b32_e32 v1, v1, v15
	s_mov_b32 s61, 0xcd9e8d57
	v_mad_u64_u32 v[6:7], s[0:1], v1, s61, 0
	v_xor_b32_e32 v1, v28, v7
	v_mad_u64_u32 v[8:9], s[0:1], v14, s61, 0
	v_and_b32_e32 v18, 3, v2
	v_xor_b32_e32 v1, v1, v8
	v_xor_b32_e32 v2, v12, v9
	v_lshrrev_b32_e32 v30, 2, v3
	v_mad_u64_u32 v[10:11], s[0:1], v1, s60, 0
	v_xor_b32_e32 v2, v2, v30
	v_xor_b32_e32 v1, v27, v11
	v_mad_u64_u32 v[2:3], s[0:1], v2, s60, 0
	v_xor_b32_e32 v1, v1, v2
	v_mad_u64_u32 v[8:9], s[0:1], v1, s61, 0
	s_mov_b32 s0, 0xbb67ae85
	v_add_co_u32_e32 v31, vcc, s0, v0
	v_xor_b32_e32 v2, v31, v3
	v_xor_b32_e32 v2, v2, v4
	v_xor_b32_e32 v1, v26, v9
	v_mad_u64_u32 v[2:3], s[0:1], v2, s61, 0
	v_xor_b32_e32 v1, v1, v2
	v_mad_u64_u32 v[4:5], s[0:1], v1, s60, 0
	s_mov_b32 s0, 0x3c6ef372
	v_add_co_u32_e32 v32, vcc, s0, v12
	v_xor_b32_e32 v2, v32, v3
	;; [unrolled: 8-line block ×6, first 2 shown]
	v_add_co_u32_e32 v21, vcc, 0xdb3d7428, v0
	v_xor_b32_e32 v2, v2, v6
	v_xor_b32_e32 v1, v21, v5
	v_mad_u64_u32 v[2:3], s[0:1], v2, s60, 0
	v_xor_b32_e32 v1, v1, v2
	v_mad_u64_u32 v[6:7], s[0:1], v1, s61, 0
	s_mov_b32 s0, 0x1fd5c5a3
	v_add_co_u32_e32 v37, vcc, s0, v0
	v_xor_b32_e32 v0, v37, v3
	v_xor_b32_e32 v0, v0, v10
	v_mad_u64_u32 v[0:1], s[0:1], v0, s61, 0
	s_mov_b32 s0, 0xf1bbcdc8
	v_add_co_u32_e32 v38, vcc, s0, v12
	s_load_dwordx2 s[46:47], s[4:5], 0xf4
	s_load_dwordx4 s[28:31], s[4:5], 0x138
	v_xor_b32_e32 v1, v38, v1
	v_xor_b32_e32 v1, v1, v8
	v_mad_u64_u32 v[8:9], s[0:1], v1, s60, 0
	v_add_u32_e32 v20, 0x96a522ad, v13
	v_xor_b32_e32 v1, v9, v4
	v_xor_b32_e32 v2, v20, v1
	v_mov_b32_e32 v1, v6
	s_waitcnt lgkmcnt(0)
	v_cvt_f32_f64_e32 v6, s[30:31]
	v_xor_b32_e32 v0, v7, v0
	v_sub_f32_e32 v7, 1.0, v6
	v_add_f32_e32 v4, -1.0, v7
	v_sub_f32_e32 v5, v4, v7
	v_add_f32_e32 v5, 1.0, v5
	v_sub_f32_e64 v4, -v6, v4
	v_mov_b32_e32 v3, v8
	v_add_f32_e32 v8, v4, v5
	v_frexp_mant_f32_e32 v9, v7
	s_mov_b32 s0, 0x3f2aaaab
	v_cvt_f64_f32_e32 v[4:5], v7
	v_frexp_exp_i32_f64_e32 v4, v[4:5]
	v_cmp_gt_f32_e32 vcc, s0, v9
	v_subbrev_co_u32_e32 v4, vcc, 0, v4, vcc
	v_sub_u32_e32 v5, 0, v4
	v_ldexp_f32 v7, v7, v5
	v_ldexp_f32 v5, v8, v5
	v_add_f32_e32 v8, -1.0, v7
	v_add_f32_e32 v11, 1.0, v7
	v_add_f32_e32 v9, 1.0, v8
	v_add_f32_e32 v16, -1.0, v11
	v_sub_f32_e32 v9, v7, v9
	v_sub_f32_e32 v7, v7, v16
	v_add_f32_e32 v9, v5, v9
	v_add_f32_e32 v5, v5, v7
	;; [unrolled: 1-line block ×3, first 2 shown]
	v_rcp_f32_e32 v16, v7
	v_add_f32_e32 v10, v8, v9
	v_sub_f32_e32 v8, v10, v8
	v_sub_f32_e32 v8, v9, v8
	;; [unrolled: 1-line block ×4, first 2 shown]
	v_mul_f32_e32 v9, v10, v16
	v_mul_f32_e32 v11, v7, v9
	v_fma_f32 v17, v9, v7, -v11
	v_fmac_f32_e32 v17, v9, v5
	v_add_f32_e32 v39, v11, v17
	v_sub_f32_e32 v40, v10, v39
	v_sub_f32_e32 v10, v10, v40
	;; [unrolled: 1-line block ×4, first 2 shown]
	v_add_f32_e32 v8, v8, v10
	v_sub_f32_e32 v10, v11, v17
	v_add_f32_e32 v8, v10, v8
	v_add_f32_e32 v10, v40, v8
	v_mul_f32_e32 v11, v16, v10
	v_mul_f32_e32 v17, v7, v11
	v_fma_f32 v7, v11, v7, -v17
	v_fmac_f32_e32 v7, v11, v5
	v_sub_f32_e32 v5, v40, v10
	v_add_f32_e32 v5, v8, v5
	v_add_f32_e32 v8, v17, v7
	v_sub_f32_e32 v39, v10, v8
	v_sub_f32_e32 v10, v10, v39
	;; [unrolled: 1-line block ×4, first 2 shown]
	v_add_f32_e32 v5, v5, v8
	v_sub_f32_e32 v7, v17, v7
	v_add_f32_e32 v5, v7, v5
	v_add_f32_e32 v7, v9, v11
	;; [unrolled: 1-line block ×3, first 2 shown]
	v_sub_f32_e32 v8, v7, v9
	v_mul_f32_e32 v5, v16, v5
	v_sub_f32_e32 v8, v11, v8
	v_add_f32_e32 v5, v8, v5
	v_cvt_f32_i32_e32 v4, v4
	v_add_f32_e32 v8, v7, v5
	v_mul_f32_e32 v9, v8, v8
	v_mov_b32_e32 v10, 0x3ecc95a3
	v_fmac_f32_e32 v10, 0x3e9b6dac, v9
	v_mov_b32_e32 v11, 0x3f2aaada
	v_fmac_f32_e32 v11, v9, v10
	s_mov_b32 s0, 0x3f317218
	v_mul_f32_e32 v10, 0x3f317218, v4
	v_fma_f32 v16, v4, s0, -v10
	v_fmac_f32_e32 v16, 0xb102e308, v4
	v_sub_f32_e32 v4, v8, v7
	v_sub_f32_e32 v4, v5, v4
	v_add_f32_e32 v5, v10, v16
	v_sub_f32_e32 v7, v5, v10
	v_ldexp_f32 v10, v8, 1
	v_mul_f32_e32 v8, v8, v9
	v_mul_f32_e32 v8, v8, v11
	v_add_f32_e32 v9, v10, v8
	v_sub_f32_e32 v10, v9, v10
	v_ldexp_f32 v4, v4, 1
	v_sub_f32_e32 v8, v8, v10
	v_add_f32_e32 v4, v4, v8
	v_add_f32_e32 v8, v9, v4
	v_sub_f32_e32 v9, v8, v9
	s_load_dwordx8 s[8:15], s[4:5], 0x30
	v_sub_f32_e32 v4, v4, v9
	v_add_f32_e32 v9, v5, v8
	v_sub_f32_e32 v10, v9, v5
	v_sub_f32_e32 v11, v9, v10
	;; [unrolled: 1-line block ×5, first 2 shown]
	s_add_u32 s34, s4, 48
	v_add_f32_e32 v5, v8, v5
	v_add_f32_e32 v8, v7, v4
	s_addc_u32 s35, s5, 0
	s_waitcnt lgkmcnt(0)
	s_add_i32 s2, s8, -1
	v_sub_f32_e32 v10, v8, v7
	s_cmp_gt_u32 s2, 1
	v_sub_f32_e32 v11, v8, v10
	s_cselect_b64 s[40:41], -1, 0
	s_cmp_lg_u32 s8, 0
	v_sub_f32_e32 v7, v7, v11
	v_sub_f32_e32 v4, v4, v10
	v_add_f32_e32 v5, v8, v5
	s_cselect_b64 s[42:43], -1, 0
	s_add_u32 s44, s4, 0xf4
	v_add_f32_e32 v4, v4, v7
	v_add_f32_e32 v7, v9, v5
	s_addc_u32 s45, s5, 0
	s_min_u32 s3, s2, 15
	v_sub_f32_e32 v8, v7, v9
	s_cmp_gt_u32 s8, 1
	v_sub_f32_e32 v5, v5, v8
	s_cselect_b64 s[48:49], -1, 0
	v_add_f32_e32 v4, v4, v5
	s_mov_b32 s0, 0xff800000
	s_add_i32 s3, s3, 1
	s_mov_b32 s8, s13
	v_add_f32_e32 v4, v7, v4
	v_cmp_eq_f32_e32 vcc, s0, v6
	s_lshl_b32 s13, s33, 1
	s_and_b32 s64, s3, 3
	v_cndmask_b32_e64 v4, v4, -v6, vcc
	v_mov_b32_e32 v5, 0x7fc00000
	v_cmp_nlt_f32_e32 vcc, 1.0, v6
	s_cmp_lg_u32 s2, 2
	v_cndmask_b32_e32 v4, v5, v4, vcc
	v_mov_b32_e32 v5, 0xff800000
	v_cmp_neq_f32_e32 vcc, 1.0, v6
	s_mov_b32 s0, 0x33800000
	s_cselect_b64 s[30:31], -1, 0
	s_and_b32 s65, s3, 28
	s_mov_b32 s59, 0
	v_add_u32_e32 v19, 0x8ff34781, v12
	v_cndmask_b32_e32 v4, v5, v4, vcc
	v_cmp_lt_f32_e64 s[0:1], |v6|, s0
	s_cmp_lg_u32 s64, 0
	v_xor_b32_e32 v0, v19, v0
	v_cndmask_b32_e64 v39, v4, -v6, s[0:1]
	s_mov_b32 s15, s59
	s_mul_i32 s62, s33, 3
	s_mov_b32 s63, s59
	s_mov_b64 s[50:51], 0
	s_cselect_b64 s[52:53], -1, 0
	s_mov_b32 s66, 0x800000
	s_mov_b32 s67, 0x3f317217
	;; [unrolled: 1-line block ×3, first 2 shown]
	v_mov_b32_e32 v40, 0x4f800000
	v_mov_b32_e32 v41, 0x41b17218
	;; [unrolled: 1-line block ×4, first 2 shown]
	s_branch .LBB19_9
.LBB19_7:                               ;   in Loop: Header=BB19_9 Depth=1
	v_cvt_f32_u32_e32 v1, v3
	v_mov_b32_e32 v2, 0x2f800000
	v_fmac_f32_e32 v2, 0x2f800000, v1
	v_cmp_gt_f32_e32 vcc, s66, v2
	v_cndmask_b32_e32 v1, 1.0, v40, vcc
	v_mul_f32_e32 v1, v2, v1
	v_log_f32_e32 v1, v1
	v_cndmask_b32_e32 v2, 0, v41, vcc
	v_mul_f32_e32 v3, 0x3f317217, v1
	v_fma_f32 v7, v1, s67, -v3
	v_fmac_f32_e32 v7, 0x3377d1cf, v1
	v_add_f32_e32 v3, v3, v7
	v_cmp_lt_f32_e64 vcc, |v1|, s68
	v_cndmask_b32_e32 v1, v1, v3, vcc
	v_sub_f32_e32 v1, v1, v2
	v_div_scale_f32 v2, s[0:1], v39, v39, v1
	v_rcp_f32_e32 v3, v2
	v_div_scale_f32 v7, vcc, v1, v39, v1
	v_fma_f32 v8, -v2, v3, 1.0
	v_fmac_f32_e32 v3, v8, v3
	v_mul_f32_e32 v8, v7, v3
	v_fma_f32 v9, -v2, v8, v7
	v_fmac_f32_e32 v8, v9, v3
	v_fma_f32 v2, -v2, v8, v7
	v_div_fmas_f32 v2, v2, v3, v8
	v_div_fixup_f32 v1, v2, v39, v1
	v_ceil_f32_e32 v1, v1
	v_cvt_i32_f32_e32 v1, v1
	global_store_short v0, v1, s[28:29]
.LBB19_8:                               ;   in Loop: Header=BB19_9 Depth=1
	s_or_b64 exec, exec, s[36:37]
	v_add_co_u32_e32 v14, vcc, s58, v14
	v_addc_co_u32_e32 v15, vcc, 0, v15, vcc
	v_mov_b32_e32 v7, v16
	v_cmp_le_i64_e32 vcc, s[26:27], v[14:15]
	v_pk_mov_b32 v[0:1], v[4:5], v[4:5] op_sel:[0,1]
	s_or_b64 s[50:51], vcc, s[50:51]
	v_pk_mov_b32 v[2:3], v[6:7], v[6:7] op_sel:[0,1]
	s_barrier
	s_andn2_b64 exec, exec, s[50:51]
	s_cbranch_execz .LBB19_82
.LBB19_9:                               ; =>This Loop Header: Depth=1
                                        ;     Child Loop BB19_24 Depth 2
                                        ;     Child Loop BB19_30 Depth 2
	;; [unrolled: 1-line block ×8, first 2 shown]
	v_add_co_u32_e32 v29, vcc, 1, v29
	v_cndmask_b32_e64 v4, 0, 1, vcc
	v_addc_co_u32_e32 v30, vcc, 0, v30, vcc
	v_cmp_eq_u32_e32 vcc, 0, v30
	v_cndmask_b32_e32 v4, 0, v4, vcc
	v_add_u32_e32 v42, v4, v42
	v_cmp_eq_u32_e32 vcc, 0, v42
	v_cndmask_b32_e32 v4, 0, v4, vcc
	v_add_u32_e32 v43, v4, v43
	v_mad_u64_u32 v[4:5], s[0:1], v29, s60, 0
	v_mad_u64_u32 v[6:7], s[0:1], v42, s61, 0
	v_xor_b32_e32 v5, v5, v13
	v_xor_b32_e32 v7, v7, v12
	v_xor_b32_e32 v5, v43, v5
	v_xor_b32_e32 v7, v30, v7
	v_mad_u64_u32 v[10:11], s[0:1], v5, s61, 0
	v_mad_u64_u32 v[8:9], s[0:1], v7, s60, 0
	v_xor_b32_e32 v5, v28, v11
	v_xor_b32_e32 v5, v5, v6
	v_xor_b32_e32 v6, v31, v9
	v_xor_b32_e32 v6, v6, v4
	;; [unrolled: 6-line block ×10, first 2 shown]
	v_mov_b32_e32 v5, v10
	v_mov_b32_e32 v6, v11
	v_cmp_lt_i32_e32 vcc, 1, v18
	s_and_saveexec_b64 s[0:1], vcc
	s_xor_b64 s[0:1], exec, s[0:1]
	s_cbranch_execz .LBB19_15
; %bb.10:                               ;   in Loop: Header=BB19_9 Depth=1
	v_cmp_lt_i32_e32 vcc, 2, v18
	s_and_saveexec_b64 s[2:3], vcc
	s_xor_b64 s[2:3], exec, s[2:3]
; %bb.11:                               ;   in Loop: Header=BB19_9 Depth=1
	v_mov_b32_e32 v8, v3
	v_mov_b32_e32 v9, v4
	v_pk_mov_b32 v[0:1], v[8:9], v[8:9] op_sel:[0,1]
	v_pk_mov_b32 v[2:3], v[10:11], v[10:11] op_sel:[0,1]
                                        ; implicit-def: $vgpr10_vgpr11
; %bb.12:                               ;   in Loop: Header=BB19_9 Depth=1
	s_andn2_saveexec_b64 s[2:3], s[2:3]
; %bb.13:                               ;   in Loop: Header=BB19_9 Depth=1
	v_mov_b32_e32 v0, v2
	v_mov_b32_e32 v1, v3
	v_mov_b32_e32 v2, v4
	v_mov_b32_e32 v3, v10
; %bb.14:                               ;   in Loop: Header=BB19_9 Depth=1
	s_or_b64 exec, exec, s[2:3]
.LBB19_15:                              ;   in Loop: Header=BB19_9 Depth=1
	s_andn2_saveexec_b64 s[0:1], s[0:1]
	s_cbranch_execz .LBB19_19
; %bb.16:                               ;   in Loop: Header=BB19_9 Depth=1
	v_cmp_eq_u32_e32 vcc, 1, v18
	s_and_saveexec_b64 s[2:3], vcc
; %bb.17:                               ;   in Loop: Header=BB19_9 Depth=1
	v_mov_b32_e32 v0, v1
	v_mov_b32_e32 v1, v2
	;; [unrolled: 1-line block ×4, first 2 shown]
; %bb.18:                               ;   in Loop: Header=BB19_9 Depth=1
	s_or_b64 exec, exec, s[2:3]
.LBB19_19:                              ;   in Loop: Header=BB19_9 Depth=1
	s_or_b64 exec, exec, s[0:1]
	v_cndmask_b32_e64 v7, 0, 1, s[40:41]
	v_cmp_gt_i64_e32 vcc, s[24:25], v[14:15]
	v_cmp_ne_u32_e64 s[0:1], 1, v7
	s_and_saveexec_b64 s[2:3], vcc
	s_cbranch_execz .LBB19_35
; %bb.20:                               ;   in Loop: Header=BB19_9 Depth=1
	s_and_b64 vcc, exec, s[0:1]
	s_cbranch_vccnz .LBB19_26
; %bb.21:                               ;   in Loop: Header=BB19_9 Depth=1
	s_andn2_b64 vcc, exec, s[42:43]
	s_cbranch_vccnz .LBB19_27
; %bb.22:                               ;   in Loop: Header=BB19_9 Depth=1
	s_mov_b32 s6, 0
	s_andn2_b64 vcc, exec, s[30:31]
	v_mov_b32_e32 v8, 0
	s_cbranch_vccnz .LBB19_28
; %bb.23:                               ;   in Loop: Header=BB19_9 Depth=1
	s_mov_b32 s69, 0
	v_mov_b32_e32 v8, 0
	s_mov_b64 s[54:55], s[34:35]
	s_mov_b64 s[56:57], s[44:45]
	v_mov_b32_e32 v7, v14
.LBB19_24:                              ;   Parent Loop BB19_9 Depth=1
                                        ; =>  This Inner Loop Header: Depth=2
	s_load_dwordx8 s[16:23], s[54:55], 0x4
	s_load_dwordx4 s[4:7], s[54:55], 0x24
	s_load_dwordx4 s[36:39], s[56:57], 0x0
	s_add_u32 s54, s54, 48
	s_addc_u32 s55, s55, 0
	s_waitcnt lgkmcnt(0)
	v_mul_hi_u32 v9, s17, v7
	v_add_u32_e32 v9, v7, v9
	v_lshrrev_b32_e32 v9, s18, v9
	v_mul_lo_u32 v10, v9, s16
	v_mul_hi_u32 v11, s20, v9
	v_sub_u32_e32 v7, v7, v10
	v_add_u32_e32 v10, v9, v11
	v_lshrrev_b32_e32 v10, s21, v10
	v_mul_lo_u32 v11, v10, s19
	v_mul_hi_u32 v17, s23, v10
	v_sub_u32_e32 v9, v9, v11
	v_add_u32_e32 v11, v10, v17
	v_mul_lo_u32 v7, v7, s36
	v_mul_lo_u32 v9, v9, s37
	v_lshrrev_b32_e32 v11, s4, v11
	v_add3_u32 v8, v7, v8, v9
	v_mul_lo_u32 v7, v11, s22
	v_mul_hi_u32 v9, s6, v11
	v_sub_u32_e32 v7, v10, v7
	v_add_u32_e32 v9, v11, v9
	v_mul_lo_u32 v10, v7, s38
	v_lshrrev_b32_e32 v7, s7, v9
	s_add_i32 s69, s69, 4
	v_mul_lo_u32 v9, v7, s5
	s_add_u32 s56, s56, 16
	v_sub_u32_e32 v9, v11, v9
	s_addc_u32 s57, s57, 0
	v_mul_lo_u32 v9, v9, s39
	s_cmp_lg_u32 s65, s69
	v_add3_u32 v8, v10, v8, v9
	s_cbranch_scc1 .LBB19_24
; %bb.25:                               ;   in Loop: Header=BB19_9 Depth=1
	s_mov_b32 s6, s65
	s_andn2_b64 vcc, exec, s[52:53]
	s_cbranch_vccz .LBB19_29
	s_branch .LBB19_31
.LBB19_26:                              ;   in Loop: Header=BB19_9 Depth=1
                                        ; implicit-def: $vgpr8
	s_branch .LBB19_32
.LBB19_27:                              ;   in Loop: Header=BB19_9 Depth=1
	v_mov_b32_e32 v8, 0
	s_branch .LBB19_31
.LBB19_28:                              ;   in Loop: Header=BB19_9 Depth=1
	v_mov_b32_e32 v7, v14
	s_andn2_b64 vcc, exec, s[52:53]
	s_cbranch_vccnz .LBB19_31
.LBB19_29:                              ;   in Loop: Header=BB19_9 Depth=1
	s_lshl_b32 s4, s6, 2
	s_add_u32 s4, s44, s4
	s_addc_u32 s5, s45, 0
	s_mul_i32 s6, s6, 12
	s_add_u32 s6, s34, s6
	s_addc_u32 s7, s35, 0
	s_mov_b32 s16, s64
.LBB19_30:                              ;   Parent Loop BB19_9 Depth=1
                                        ; =>  This Inner Loop Header: Depth=2
	s_load_dwordx2 s[18:19], s[6:7], 0x4
	s_load_dword s17, s[6:7], 0xc
	s_load_dword s20, s[4:5], 0x0
	s_add_u32 s6, s6, 12
	s_addc_u32 s7, s7, 0
	s_waitcnt lgkmcnt(0)
	v_mul_hi_u32 v9, s19, v7
	v_add_u32_e32 v9, v7, v9
	v_lshrrev_b32_e32 v9, s17, v9
	s_add_u32 s4, s4, 4
	v_mul_lo_u32 v10, v9, s18
	s_addc_u32 s5, s5, 0
	s_add_i32 s16, s16, -1
	v_sub_u32_e32 v10, v7, v10
	s_cmp_lg_u32 s16, 0
	v_mov_b32_e32 v7, v9
	v_mad_u64_u32 v[8:9], s[18:19], v10, s20, v[8:9]
	s_cbranch_scc1 .LBB19_30
.LBB19_31:                              ;   in Loop: Header=BB19_9 Depth=1
	s_cbranch_execnz .LBB19_34
.LBB19_32:                              ;   in Loop: Header=BB19_9 Depth=1
	v_mul_hi_u32 v7, v14, s10
	v_add_u32_e32 v7, v7, v14
	v_lshrrev_b32_e32 v7, s11, v7
	v_mul_lo_u32 v8, v7, s9
	v_sub_u32_e32 v8, v14, v8
	s_andn2_b64 vcc, exec, s[48:49]
	v_mul_lo_u32 v8, v8, s46
	s_cbranch_vccnz .LBB19_34
; %bb.33:                               ;   in Loop: Header=BB19_9 Depth=1
	v_mul_hi_u32 v9, s8, v7
	v_add_u32_e32 v9, v7, v9
	v_lshrrev_b32_e32 v9, s14, v9
	v_mul_lo_u32 v9, v9, s12
	v_sub_u32_e32 v7, v7, v9
	v_mad_u64_u32 v[8:9], s[4:5], v7, s47, v[8:9]
.LBB19_34:                              ;   in Loop: Header=BB19_9 Depth=1
	v_cvt_f32_u32_e32 v0, v0
	v_mov_b32_e32 v7, 0x2f800000
	v_fmac_f32_e32 v7, 0x2f800000, v0
	v_cmp_gt_f32_e32 vcc, s66, v7
	v_cndmask_b32_e32 v0, 1.0, v40, vcc
	v_mul_f32_e32 v0, v7, v0
	v_log_f32_e32 v0, v0
	v_cndmask_b32_e32 v7, 0, v41, vcc
	v_mul_f32_e32 v9, 0x3f317217, v0
	v_fma_f32 v10, v0, s67, -v9
	v_fmac_f32_e32 v10, 0x3377d1cf, v0
	v_add_f32_e32 v9, v9, v10
	v_cmp_lt_f32_e64 vcc, |v0|, s68
	v_cndmask_b32_e32 v0, v0, v9, vcc
	v_sub_f32_e32 v0, v0, v7
	v_div_scale_f32 v7, s[4:5], v39, v39, v0
	v_rcp_f32_e32 v9, v7
	v_div_scale_f32 v10, vcc, v0, v39, v0
	v_fma_f32 v11, -v7, v9, 1.0
	v_fmac_f32_e32 v9, v11, v9
	v_mul_f32_e32 v11, v10, v9
	v_fma_f32 v17, -v7, v11, v10
	v_fmac_f32_e32 v11, v17, v9
	v_fma_f32 v7, -v7, v11, v10
	v_div_fmas_f32 v7, v7, v9, v11
	v_div_fixup_f32 v0, v7, v39, v0
	v_ceil_f32_e32 v0, v0
	v_cvt_i32_f32_e32 v0, v0
	global_store_short v8, v0, s[28:29]
.LBB19_35:                              ;   in Loop: Header=BB19_9 Depth=1
	s_or_b64 exec, exec, s[2:3]
	v_mov_b32_e32 v0, s59
	v_add_co_u32_e32 v10, vcc, s33, v14
	v_addc_co_u32_e32 v11, vcc, v15, v0, vcc
	v_cmp_gt_i64_e32 vcc, s[24:25], v[10:11]
	s_and_saveexec_b64 s[2:3], vcc
	s_cbranch_execz .LBB19_51
; %bb.36:                               ;   in Loop: Header=BB19_9 Depth=1
	s_and_b64 vcc, exec, s[0:1]
	s_cbranch_vccnz .LBB19_42
; %bb.37:                               ;   in Loop: Header=BB19_9 Depth=1
	s_andn2_b64 vcc, exec, s[42:43]
	s_cbranch_vccnz .LBB19_43
; %bb.38:                               ;   in Loop: Header=BB19_9 Depth=1
	s_mov_b32 s6, 0
	s_andn2_b64 vcc, exec, s[30:31]
	v_mov_b32_e32 v8, 0
	s_cbranch_vccnz .LBB19_44
; %bb.39:                               ;   in Loop: Header=BB19_9 Depth=1
	s_mov_b32 s69, 0
	v_mov_b32_e32 v8, 0
	s_mov_b64 s[54:55], s[34:35]
	s_mov_b64 s[56:57], s[44:45]
	v_mov_b32_e32 v0, v10
.LBB19_40:                              ;   Parent Loop BB19_9 Depth=1
                                        ; =>  This Inner Loop Header: Depth=2
	s_load_dwordx8 s[16:23], s[54:55], 0x4
	s_load_dwordx4 s[4:7], s[54:55], 0x24
	s_load_dwordx4 s[36:39], s[56:57], 0x0
	s_add_u32 s54, s54, 48
	s_addc_u32 s55, s55, 0
	s_waitcnt lgkmcnt(0)
	v_mul_hi_u32 v7, s17, v0
	v_add_u32_e32 v7, v0, v7
	v_lshrrev_b32_e32 v7, s18, v7
	v_mul_lo_u32 v9, v7, s16
	v_mul_hi_u32 v11, s20, v7
	v_sub_u32_e32 v0, v0, v9
	v_add_u32_e32 v9, v7, v11
	v_lshrrev_b32_e32 v9, s21, v9
	v_mul_lo_u32 v11, v9, s19
	v_mul_hi_u32 v17, s23, v9
	v_sub_u32_e32 v7, v7, v11
	v_add_u32_e32 v11, v9, v17
	v_mul_lo_u32 v0, v0, s36
	v_mul_lo_u32 v7, v7, s37
	v_lshrrev_b32_e32 v11, s4, v11
	v_add3_u32 v7, v0, v8, v7
	v_mul_lo_u32 v0, v11, s22
	v_mul_hi_u32 v8, s6, v11
	v_sub_u32_e32 v0, v9, v0
	v_add_u32_e32 v8, v11, v8
	v_mul_lo_u32 v9, v0, s38
	v_lshrrev_b32_e32 v0, s7, v8
	s_add_i32 s69, s69, 4
	v_mul_lo_u32 v8, v0, s5
	s_add_u32 s56, s56, 16
	v_sub_u32_e32 v8, v11, v8
	s_addc_u32 s57, s57, 0
	v_mul_lo_u32 v8, v8, s39
	s_cmp_eq_u32 s65, s69
	v_add3_u32 v8, v9, v7, v8
	s_cbranch_scc0 .LBB19_40
; %bb.41:                               ;   in Loop: Header=BB19_9 Depth=1
	s_mov_b32 s6, s65
	s_andn2_b64 vcc, exec, s[52:53]
	s_cbranch_vccz .LBB19_45
	s_branch .LBB19_47
.LBB19_42:                              ;   in Loop: Header=BB19_9 Depth=1
                                        ; implicit-def: $vgpr8
	s_branch .LBB19_48
.LBB19_43:                              ;   in Loop: Header=BB19_9 Depth=1
	v_mov_b32_e32 v8, 0
	s_branch .LBB19_47
.LBB19_44:                              ;   in Loop: Header=BB19_9 Depth=1
	v_mov_b32_e32 v0, v10
	s_andn2_b64 vcc, exec, s[52:53]
	s_cbranch_vccnz .LBB19_47
.LBB19_45:                              ;   in Loop: Header=BB19_9 Depth=1
	s_lshl_b32 s4, s6, 2
	s_add_u32 s4, s44, s4
	s_addc_u32 s5, s45, 0
	s_mul_i32 s6, s6, 12
	s_add_u32 s6, s34, s6
	s_addc_u32 s7, s35, 0
	s_mov_b32 s16, s64
.LBB19_46:                              ;   Parent Loop BB19_9 Depth=1
                                        ; =>  This Inner Loop Header: Depth=2
	s_load_dwordx2 s[18:19], s[6:7], 0x4
	s_load_dword s17, s[6:7], 0xc
	s_load_dword s20, s[4:5], 0x0
	s_add_u32 s6, s6, 12
	s_addc_u32 s7, s7, 0
	s_waitcnt lgkmcnt(0)
	v_mul_hi_u32 v7, s19, v0
	v_add_u32_e32 v7, v0, v7
	v_lshrrev_b32_e32 v7, s17, v7
	s_add_u32 s4, s4, 4
	v_mul_lo_u32 v9, v7, s18
	s_addc_u32 s5, s5, 0
	s_add_i32 s16, s16, -1
	v_sub_u32_e32 v9, v0, v9
	s_cmp_lg_u32 s16, 0
	v_mov_b32_e32 v0, v7
	v_mad_u64_u32 v[8:9], s[18:19], v9, s20, v[8:9]
	s_cbranch_scc1 .LBB19_46
.LBB19_47:                              ;   in Loop: Header=BB19_9 Depth=1
	s_cbranch_execnz .LBB19_50
.LBB19_48:                              ;   in Loop: Header=BB19_9 Depth=1
	v_mul_hi_u32 v0, v10, s10
	v_add_u32_e32 v0, v0, v10
	v_lshrrev_b32_e32 v0, s11, v0
	v_mul_lo_u32 v7, v0, s9
	v_sub_u32_e32 v7, v10, v7
	s_andn2_b64 vcc, exec, s[48:49]
	v_mul_lo_u32 v8, v7, s46
	s_cbranch_vccnz .LBB19_50
; %bb.49:                               ;   in Loop: Header=BB19_9 Depth=1
	v_mul_hi_u32 v7, s8, v0
	v_add_u32_e32 v7, v0, v7
	v_lshrrev_b32_e32 v7, s14, v7
	v_mul_lo_u32 v7, v7, s12
	v_sub_u32_e32 v0, v0, v7
	v_mad_u64_u32 v[8:9], s[4:5], v0, s47, v[8:9]
.LBB19_50:                              ;   in Loop: Header=BB19_9 Depth=1
	v_cvt_f32_u32_e32 v0, v1
	v_mov_b32_e32 v1, 0x2f800000
	v_fmac_f32_e32 v1, 0x2f800000, v0
	v_cmp_gt_f32_e32 vcc, s66, v1
	v_cndmask_b32_e32 v0, 1.0, v40, vcc
	v_mul_f32_e32 v0, v1, v0
	v_log_f32_e32 v0, v0
	v_cndmask_b32_e32 v1, 0, v41, vcc
	v_mul_f32_e32 v7, 0x3f317217, v0
	v_fma_f32 v9, v0, s67, -v7
	v_fmac_f32_e32 v9, 0x3377d1cf, v0
	v_add_f32_e32 v7, v7, v9
	v_cmp_lt_f32_e64 vcc, |v0|, s68
	v_cndmask_b32_e32 v0, v0, v7, vcc
	v_sub_f32_e32 v0, v0, v1
	v_div_scale_f32 v1, s[4:5], v39, v39, v0
	v_rcp_f32_e32 v7, v1
	v_div_scale_f32 v9, vcc, v0, v39, v0
	v_fma_f32 v10, -v1, v7, 1.0
	v_fmac_f32_e32 v7, v10, v7
	v_mul_f32_e32 v10, v9, v7
	v_fma_f32 v11, -v1, v10, v9
	v_fmac_f32_e32 v10, v11, v7
	v_fma_f32 v1, -v1, v10, v9
	v_div_fmas_f32 v1, v1, v7, v10
	v_div_fixup_f32 v0, v1, v39, v0
	v_ceil_f32_e32 v0, v0
	v_cvt_i32_f32_e32 v0, v0
	global_store_short v8, v0, s[28:29]
.LBB19_51:                              ;   in Loop: Header=BB19_9 Depth=1
	s_or_b64 exec, exec, s[2:3]
	v_mov_b32_e32 v0, s15
	v_add_co_u32_e32 v8, vcc, s13, v14
	v_addc_co_u32_e32 v9, vcc, v15, v0, vcc
	v_cmp_gt_i64_e32 vcc, s[24:25], v[8:9]
	s_and_saveexec_b64 s[2:3], vcc
	s_cbranch_execz .LBB19_67
; %bb.52:                               ;   in Loop: Header=BB19_9 Depth=1
	s_and_b64 vcc, exec, s[0:1]
	s_cbranch_vccnz .LBB19_58
; %bb.53:                               ;   in Loop: Header=BB19_9 Depth=1
	s_andn2_b64 vcc, exec, s[42:43]
	s_cbranch_vccnz .LBB19_59
; %bb.54:                               ;   in Loop: Header=BB19_9 Depth=1
	s_mov_b32 s6, 0
	s_andn2_b64 vcc, exec, s[30:31]
	v_mov_b32_e32 v0, 0
	s_cbranch_vccnz .LBB19_60
; %bb.55:                               ;   in Loop: Header=BB19_9 Depth=1
	s_mov_b32 s69, 0
	v_mov_b32_e32 v0, 0
	s_mov_b64 s[54:55], s[34:35]
	s_mov_b64 s[56:57], s[44:45]
	v_mov_b32_e32 v7, v8
.LBB19_56:                              ;   Parent Loop BB19_9 Depth=1
                                        ; =>  This Inner Loop Header: Depth=2
	s_load_dwordx8 s[16:23], s[54:55], 0x4
	s_load_dwordx4 s[4:7], s[54:55], 0x24
	s_load_dwordx4 s[36:39], s[56:57], 0x0
	s_add_u32 s54, s54, 48
	s_addc_u32 s55, s55, 0
	s_waitcnt lgkmcnt(0)
	v_mul_hi_u32 v1, s17, v7
	v_add_u32_e32 v1, v7, v1
	v_lshrrev_b32_e32 v1, s18, v1
	v_mul_lo_u32 v9, v1, s16
	v_mul_hi_u32 v10, s20, v1
	v_sub_u32_e32 v7, v7, v9
	v_add_u32_e32 v9, v1, v10
	v_lshrrev_b32_e32 v9, s21, v9
	v_mul_lo_u32 v10, v9, s19
	v_mul_hi_u32 v11, s23, v9
	v_sub_u32_e32 v1, v1, v10
	v_add_u32_e32 v10, v9, v11
	v_mul_lo_u32 v7, v7, s36
	v_mul_lo_u32 v1, v1, s37
	v_lshrrev_b32_e32 v10, s4, v10
	v_add3_u32 v0, v7, v0, v1
	v_mul_hi_u32 v7, s6, v10
	v_add_u32_e32 v7, v10, v7
	v_mul_lo_u32 v1, v10, s22
	v_lshrrev_b32_e32 v7, s7, v7
	s_add_i32 s69, s69, 4
	v_sub_u32_e32 v1, v9, v1
	v_mul_lo_u32 v9, v7, s5
	s_add_u32 s56, s56, 16
	v_sub_u32_e32 v9, v10, v9
	s_addc_u32 s57, s57, 0
	v_mul_lo_u32 v1, v1, s38
	v_mul_lo_u32 v9, v9, s39
	s_cmp_eq_u32 s65, s69
	v_add3_u32 v0, v1, v0, v9
	s_cbranch_scc0 .LBB19_56
; %bb.57:                               ;   in Loop: Header=BB19_9 Depth=1
	s_mov_b32 s6, s65
	s_andn2_b64 vcc, exec, s[52:53]
	s_cbranch_vccz .LBB19_61
	s_branch .LBB19_63
.LBB19_58:                              ;   in Loop: Header=BB19_9 Depth=1
                                        ; implicit-def: $vgpr0
	s_branch .LBB19_64
.LBB19_59:                              ;   in Loop: Header=BB19_9 Depth=1
	v_mov_b32_e32 v0, 0
	s_branch .LBB19_63
.LBB19_60:                              ;   in Loop: Header=BB19_9 Depth=1
	v_mov_b32_e32 v7, v8
	s_andn2_b64 vcc, exec, s[52:53]
	s_cbranch_vccnz .LBB19_63
.LBB19_61:                              ;   in Loop: Header=BB19_9 Depth=1
	s_lshl_b32 s4, s6, 2
	s_add_u32 s4, s44, s4
	s_addc_u32 s5, s45, 0
	s_mul_i32 s6, s6, 12
	s_add_u32 s6, s34, s6
	s_addc_u32 s7, s35, 0
	s_mov_b32 s16, s64
.LBB19_62:                              ;   Parent Loop BB19_9 Depth=1
                                        ; =>  This Inner Loop Header: Depth=2
	s_load_dwordx2 s[18:19], s[6:7], 0x4
	s_load_dword s17, s[6:7], 0xc
	s_load_dword s20, s[4:5], 0x0
	s_add_u32 s6, s6, 12
	s_addc_u32 s7, s7, 0
	s_waitcnt lgkmcnt(0)
	v_mul_hi_u32 v1, s19, v7
	v_add_u32_e32 v1, v7, v1
	v_lshrrev_b32_e32 v1, s17, v1
	s_add_u32 s4, s4, 4
	v_mul_lo_u32 v9, v1, s18
	s_addc_u32 s5, s5, 0
	s_add_i32 s16, s16, -1
	v_sub_u32_e32 v9, v7, v9
	s_cmp_lg_u32 s16, 0
	v_mov_b32_e32 v7, v1
	v_mad_u64_u32 v[0:1], s[18:19], v9, s20, v[0:1]
	s_cbranch_scc1 .LBB19_62
.LBB19_63:                              ;   in Loop: Header=BB19_9 Depth=1
	s_cbranch_execnz .LBB19_66
.LBB19_64:                              ;   in Loop: Header=BB19_9 Depth=1
	v_mul_hi_u32 v0, v8, s10
	v_add_u32_e32 v0, v0, v8
	v_lshrrev_b32_e32 v1, s11, v0
	v_mul_lo_u32 v0, v1, s9
	v_sub_u32_e32 v0, v8, v0
	s_andn2_b64 vcc, exec, s[48:49]
	v_mul_lo_u32 v0, v0, s46
	s_cbranch_vccnz .LBB19_66
; %bb.65:                               ;   in Loop: Header=BB19_9 Depth=1
	v_mul_hi_u32 v7, s8, v1
	v_add_u32_e32 v7, v1, v7
	v_lshrrev_b32_e32 v7, s14, v7
	v_mul_lo_u32 v7, v7, s12
	v_sub_u32_e32 v1, v1, v7
	v_mad_u64_u32 v[0:1], s[4:5], v1, s47, v[0:1]
.LBB19_66:                              ;   in Loop: Header=BB19_9 Depth=1
	v_cvt_f32_u32_e32 v1, v2
	v_mov_b32_e32 v2, 0x2f800000
	v_fmac_f32_e32 v2, 0x2f800000, v1
	v_cmp_gt_f32_e32 vcc, s66, v2
	v_cndmask_b32_e32 v1, 1.0, v40, vcc
	v_mul_f32_e32 v1, v2, v1
	v_log_f32_e32 v1, v1
	v_cndmask_b32_e32 v2, 0, v41, vcc
	v_mul_f32_e32 v7, 0x3f317217, v1
	v_fma_f32 v8, v1, s67, -v7
	v_fmac_f32_e32 v8, 0x3377d1cf, v1
	v_add_f32_e32 v7, v7, v8
	v_cmp_lt_f32_e64 vcc, |v1|, s68
	v_cndmask_b32_e32 v1, v1, v7, vcc
	v_sub_f32_e32 v1, v1, v2
	v_div_scale_f32 v2, s[4:5], v39, v39, v1
	v_rcp_f32_e32 v7, v2
	v_div_scale_f32 v8, vcc, v1, v39, v1
	v_fma_f32 v9, -v2, v7, 1.0
	v_fmac_f32_e32 v7, v9, v7
	v_mul_f32_e32 v9, v8, v7
	v_fma_f32 v10, -v2, v9, v8
	v_fmac_f32_e32 v9, v10, v7
	v_fma_f32 v2, -v2, v9, v8
	v_div_fmas_f32 v2, v2, v7, v9
	v_div_fixup_f32 v1, v2, v39, v1
	v_ceil_f32_e32 v1, v1
	v_cvt_i32_f32_e32 v1, v1
	global_store_short v0, v1, s[28:29]
.LBB19_67:                              ;   in Loop: Header=BB19_9 Depth=1
	s_or_b64 exec, exec, s[2:3]
	v_mov_b32_e32 v0, s63
	v_add_co_u32_e32 v8, vcc, s62, v14
	v_addc_co_u32_e32 v9, vcc, v15, v0, vcc
	v_cmp_gt_i64_e32 vcc, s[24:25], v[8:9]
	s_and_saveexec_b64 s[36:37], vcc
	s_cbranch_execz .LBB19_8
; %bb.68:                               ;   in Loop: Header=BB19_9 Depth=1
	s_and_b64 vcc, exec, s[0:1]
	s_cbranch_vccnz .LBB19_74
; %bb.69:                               ;   in Loop: Header=BB19_9 Depth=1
	s_andn2_b64 vcc, exec, s[42:43]
	s_cbranch_vccnz .LBB19_75
; %bb.70:                               ;   in Loop: Header=BB19_9 Depth=1
	s_mov_b32 s2, 0
	s_andn2_b64 vcc, exec, s[30:31]
	v_mov_b32_e32 v0, 0
	s_cbranch_vccnz .LBB19_76
; %bb.71:                               ;   in Loop: Header=BB19_9 Depth=1
	s_mov_b32 s56, 0
	v_mov_b32_e32 v0, 0
	s_mov_b64 s[38:39], s[34:35]
	s_mov_b64 s[54:55], s[44:45]
	v_mov_b32_e32 v2, v8
.LBB19_72:                              ;   Parent Loop BB19_9 Depth=1
                                        ; =>  This Inner Loop Header: Depth=2
	s_load_dwordx8 s[0:7], s[38:39], 0x4
	s_load_dwordx4 s[16:19], s[38:39], 0x24
	s_load_dwordx4 s[20:23], s[54:55], 0x0
	s_add_u32 s38, s38, 48
	s_addc_u32 s39, s39, 0
	s_waitcnt lgkmcnt(0)
	v_mul_hi_u32 v1, s1, v2
	v_add_u32_e32 v1, v2, v1
	v_lshrrev_b32_e32 v1, s2, v1
	v_mul_lo_u32 v7, v1, s0
	v_mul_hi_u32 v9, s4, v1
	v_sub_u32_e32 v2, v2, v7
	v_add_u32_e32 v7, v1, v9
	v_lshrrev_b32_e32 v7, s5, v7
	v_mul_lo_u32 v9, v7, s3
	v_mul_hi_u32 v10, s7, v7
	v_sub_u32_e32 v1, v1, v9
	v_add_u32_e32 v9, v7, v10
	v_mul_lo_u32 v2, v2, s20
	v_mul_lo_u32 v1, v1, s21
	v_lshrrev_b32_e32 v9, s16, v9
	v_add3_u32 v0, v2, v0, v1
	v_mul_hi_u32 v2, s18, v9
	v_add_u32_e32 v2, v9, v2
	v_mul_lo_u32 v1, v9, s6
	v_lshrrev_b32_e32 v2, s19, v2
	s_add_i32 s56, s56, 4
	v_sub_u32_e32 v1, v7, v1
	v_mul_lo_u32 v7, v2, s17
	s_add_u32 s54, s54, 16
	v_sub_u32_e32 v7, v9, v7
	s_addc_u32 s55, s55, 0
	v_mul_lo_u32 v1, v1, s22
	v_mul_lo_u32 v7, v7, s23
	s_cmp_eq_u32 s65, s56
	v_add3_u32 v0, v1, v0, v7
	s_cbranch_scc0 .LBB19_72
; %bb.73:                               ;   in Loop: Header=BB19_9 Depth=1
	s_mov_b32 s2, s65
	s_andn2_b64 vcc, exec, s[52:53]
	s_cbranch_vccz .LBB19_77
	s_branch .LBB19_79
.LBB19_74:                              ;   in Loop: Header=BB19_9 Depth=1
                                        ; implicit-def: $vgpr0
	s_branch .LBB19_80
.LBB19_75:                              ;   in Loop: Header=BB19_9 Depth=1
	v_mov_b32_e32 v0, 0
	s_branch .LBB19_79
.LBB19_76:                              ;   in Loop: Header=BB19_9 Depth=1
	v_mov_b32_e32 v2, v8
	s_andn2_b64 vcc, exec, s[52:53]
	s_cbranch_vccnz .LBB19_79
.LBB19_77:                              ;   in Loop: Header=BB19_9 Depth=1
	s_lshl_b32 s0, s2, 2
	s_add_u32 s0, s44, s0
	s_addc_u32 s1, s45, 0
	s_mul_i32 s2, s2, 12
	s_add_u32 s2, s34, s2
	s_addc_u32 s3, s35, 0
	s_mov_b32 s4, s64
.LBB19_78:                              ;   Parent Loop BB19_9 Depth=1
                                        ; =>  This Inner Loop Header: Depth=2
	s_load_dwordx2 s[6:7], s[2:3], 0x4
	s_load_dword s5, s[2:3], 0xc
	s_load_dword s16, s[0:1], 0x0
	s_add_u32 s2, s2, 12
	s_addc_u32 s3, s3, 0
	s_waitcnt lgkmcnt(0)
	v_mul_hi_u32 v1, s7, v2
	v_add_u32_e32 v1, v2, v1
	v_lshrrev_b32_e32 v1, s5, v1
	s_add_u32 s0, s0, 4
	v_mul_lo_u32 v7, v1, s6
	s_addc_u32 s1, s1, 0
	s_add_i32 s4, s4, -1
	v_sub_u32_e32 v7, v2, v7
	s_cmp_lg_u32 s4, 0
	v_mov_b32_e32 v2, v1
	v_mad_u64_u32 v[0:1], s[6:7], v7, s16, v[0:1]
	s_cbranch_scc1 .LBB19_78
.LBB19_79:                              ;   in Loop: Header=BB19_9 Depth=1
	s_cbranch_execnz .LBB19_7
.LBB19_80:                              ;   in Loop: Header=BB19_9 Depth=1
	v_mul_hi_u32 v0, v8, s10
	v_add_u32_e32 v0, v0, v8
	v_lshrrev_b32_e32 v1, s11, v0
	v_mul_lo_u32 v0, v1, s9
	v_sub_u32_e32 v0, v8, v0
	s_andn2_b64 vcc, exec, s[48:49]
	v_mul_lo_u32 v0, v0, s46
	s_cbranch_vccnz .LBB19_7
; %bb.81:                               ;   in Loop: Header=BB19_9 Depth=1
	v_mul_hi_u32 v2, s8, v1
	v_add_u32_e32 v2, v1, v2
	v_lshrrev_b32_e32 v2, s14, v2
	v_mul_lo_u32 v2, v2, s12
	v_sub_u32_e32 v1, v1, v2
	v_mad_u64_u32 v[0:1], s[0:1], v1, s47, v[0:1]
	s_branch .LBB19_7
.LBB19_82:
	s_endpgm
.LBB19_83:
                                        ; implicit-def: $sgpr2_sgpr3
	s_andn2_b64 vcc, exec, s[0:1]
	s_cbranch_vccz .LBB19_4
	s_branch .LBB19_5
	.section	.rodata,"a",@progbits
	.p2align	6, 0x0
	.amdhsa_kernel _ZN2at6native12_GLOBAL__N_143distribution_elementwise_grid_stride_kernelIfLi4EZNS0_9templates4cuda21uniform_and_transformIsfPNS_17CUDAGeneratorImplEZZZNS4_16geometric_kernelIS7_EEvRNS_18TensorIteratorBaseEdT_ENKUlvE_clEvENKUlvE3_clEvEUlfE_EEvSA_T1_T2_EUlP25hiprandStatePhilox4_32_10E0_ZNS1_27distribution_nullary_kernelIsf15HIP_vector_typeIfLj4EES7_SJ_SE_EEvSA_SG_RKT3_T4_EUlifE0_EEvlNS_15PhiloxCudaStateESF_SG_
		.amdhsa_group_segment_fixed_size 0
		.amdhsa_private_segment_fixed_size 0
		.amdhsa_kernarg_size 584
		.amdhsa_user_sgpr_count 6
		.amdhsa_user_sgpr_private_segment_buffer 1
		.amdhsa_user_sgpr_dispatch_ptr 0
		.amdhsa_user_sgpr_queue_ptr 0
		.amdhsa_user_sgpr_kernarg_segment_ptr 1
		.amdhsa_user_sgpr_dispatch_id 0
		.amdhsa_user_sgpr_flat_scratch_init 0
		.amdhsa_user_sgpr_kernarg_preload_length 0
		.amdhsa_user_sgpr_kernarg_preload_offset 0
		.amdhsa_user_sgpr_private_segment_size 0
		.amdhsa_uses_dynamic_stack 0
		.amdhsa_system_sgpr_private_segment_wavefront_offset 0
		.amdhsa_system_sgpr_workgroup_id_x 1
		.amdhsa_system_sgpr_workgroup_id_y 0
		.amdhsa_system_sgpr_workgroup_id_z 0
		.amdhsa_system_sgpr_workgroup_info 0
		.amdhsa_system_vgpr_workitem_id 0
		.amdhsa_next_free_vgpr 44
		.amdhsa_next_free_sgpr 70
		.amdhsa_accum_offset 44
		.amdhsa_reserve_vcc 1
		.amdhsa_reserve_flat_scratch 0
		.amdhsa_float_round_mode_32 0
		.amdhsa_float_round_mode_16_64 0
		.amdhsa_float_denorm_mode_32 3
		.amdhsa_float_denorm_mode_16_64 3
		.amdhsa_dx10_clamp 1
		.amdhsa_ieee_mode 1
		.amdhsa_fp16_overflow 0
		.amdhsa_tg_split 0
		.amdhsa_exception_fp_ieee_invalid_op 0
		.amdhsa_exception_fp_denorm_src 0
		.amdhsa_exception_fp_ieee_div_zero 0
		.amdhsa_exception_fp_ieee_overflow 0
		.amdhsa_exception_fp_ieee_underflow 0
		.amdhsa_exception_fp_ieee_inexact 0
		.amdhsa_exception_int_div_zero 0
	.end_amdhsa_kernel
	.section	.text._ZN2at6native12_GLOBAL__N_143distribution_elementwise_grid_stride_kernelIfLi4EZNS0_9templates4cuda21uniform_and_transformIsfPNS_17CUDAGeneratorImplEZZZNS4_16geometric_kernelIS7_EEvRNS_18TensorIteratorBaseEdT_ENKUlvE_clEvENKUlvE3_clEvEUlfE_EEvSA_T1_T2_EUlP25hiprandStatePhilox4_32_10E0_ZNS1_27distribution_nullary_kernelIsf15HIP_vector_typeIfLj4EES7_SJ_SE_EEvSA_SG_RKT3_T4_EUlifE0_EEvlNS_15PhiloxCudaStateESF_SG_,"axG",@progbits,_ZN2at6native12_GLOBAL__N_143distribution_elementwise_grid_stride_kernelIfLi4EZNS0_9templates4cuda21uniform_and_transformIsfPNS_17CUDAGeneratorImplEZZZNS4_16geometric_kernelIS7_EEvRNS_18TensorIteratorBaseEdT_ENKUlvE_clEvENKUlvE3_clEvEUlfE_EEvSA_T1_T2_EUlP25hiprandStatePhilox4_32_10E0_ZNS1_27distribution_nullary_kernelIsf15HIP_vector_typeIfLj4EES7_SJ_SE_EEvSA_SG_RKT3_T4_EUlifE0_EEvlNS_15PhiloxCudaStateESF_SG_,comdat
.Lfunc_end19:
	.size	_ZN2at6native12_GLOBAL__N_143distribution_elementwise_grid_stride_kernelIfLi4EZNS0_9templates4cuda21uniform_and_transformIsfPNS_17CUDAGeneratorImplEZZZNS4_16geometric_kernelIS7_EEvRNS_18TensorIteratorBaseEdT_ENKUlvE_clEvENKUlvE3_clEvEUlfE_EEvSA_T1_T2_EUlP25hiprandStatePhilox4_32_10E0_ZNS1_27distribution_nullary_kernelIsf15HIP_vector_typeIfLj4EES7_SJ_SE_EEvSA_SG_RKT3_T4_EUlifE0_EEvlNS_15PhiloxCudaStateESF_SG_, .Lfunc_end19-_ZN2at6native12_GLOBAL__N_143distribution_elementwise_grid_stride_kernelIfLi4EZNS0_9templates4cuda21uniform_and_transformIsfPNS_17CUDAGeneratorImplEZZZNS4_16geometric_kernelIS7_EEvRNS_18TensorIteratorBaseEdT_ENKUlvE_clEvENKUlvE3_clEvEUlfE_EEvSA_T1_T2_EUlP25hiprandStatePhilox4_32_10E0_ZNS1_27distribution_nullary_kernelIsf15HIP_vector_typeIfLj4EES7_SJ_SE_EEvSA_SG_RKT3_T4_EUlifE0_EEvlNS_15PhiloxCudaStateESF_SG_
                                        ; -- End function
	.section	.AMDGPU.csdata,"",@progbits
; Kernel info:
; codeLenInByte = 5568
; NumSgprs: 74
; NumVgprs: 44
; NumAgprs: 0
; TotalNumVgprs: 44
; ScratchSize: 0
; MemoryBound: 0
; FloatMode: 240
; IeeeMode: 1
; LDSByteSize: 0 bytes/workgroup (compile time only)
; SGPRBlocks: 9
; VGPRBlocks: 5
; NumSGPRsForWavesPerEU: 74
; NumVGPRsForWavesPerEU: 44
; AccumOffset: 44
; Occupancy: 8
; WaveLimiterHint : 1
; COMPUTE_PGM_RSRC2:SCRATCH_EN: 0
; COMPUTE_PGM_RSRC2:USER_SGPR: 6
; COMPUTE_PGM_RSRC2:TRAP_HANDLER: 0
; COMPUTE_PGM_RSRC2:TGID_X_EN: 1
; COMPUTE_PGM_RSRC2:TGID_Y_EN: 0
; COMPUTE_PGM_RSRC2:TGID_Z_EN: 0
; COMPUTE_PGM_RSRC2:TIDIG_COMP_CNT: 0
; COMPUTE_PGM_RSRC3_GFX90A:ACCUM_OFFSET: 10
; COMPUTE_PGM_RSRC3_GFX90A:TG_SPLIT: 0
	.section	.text._ZN2at6native12_GLOBAL__N_143distribution_elementwise_grid_stride_kernelIdLi2EZNS0_9templates4cuda21uniform_and_transformIddPNS_17CUDAGeneratorImplEZZZNS4_16geometric_kernelIS7_EEvRNS_18TensorIteratorBaseEdT_ENKUlvE_clEvENKUlvE4_clEvEUldE_EEvSA_T1_T2_EUlP25hiprandStatePhilox4_32_10E_ZNS1_27distribution_nullary_kernelIdd15HIP_vector_typeIdLj2EES7_SJ_SE_EEvSA_SG_RKT3_T4_EUlidE_EEvlNS_15PhiloxCudaStateESF_SG_,"axG",@progbits,_ZN2at6native12_GLOBAL__N_143distribution_elementwise_grid_stride_kernelIdLi2EZNS0_9templates4cuda21uniform_and_transformIddPNS_17CUDAGeneratorImplEZZZNS4_16geometric_kernelIS7_EEvRNS_18TensorIteratorBaseEdT_ENKUlvE_clEvENKUlvE4_clEvEUldE_EEvSA_T1_T2_EUlP25hiprandStatePhilox4_32_10E_ZNS1_27distribution_nullary_kernelIdd15HIP_vector_typeIdLj2EES7_SJ_SE_EEvSA_SG_RKT3_T4_EUlidE_EEvlNS_15PhiloxCudaStateESF_SG_,comdat
	.globl	_ZN2at6native12_GLOBAL__N_143distribution_elementwise_grid_stride_kernelIdLi2EZNS0_9templates4cuda21uniform_and_transformIddPNS_17CUDAGeneratorImplEZZZNS4_16geometric_kernelIS7_EEvRNS_18TensorIteratorBaseEdT_ENKUlvE_clEvENKUlvE4_clEvEUldE_EEvSA_T1_T2_EUlP25hiprandStatePhilox4_32_10E_ZNS1_27distribution_nullary_kernelIdd15HIP_vector_typeIdLj2EES7_SJ_SE_EEvSA_SG_RKT3_T4_EUlidE_EEvlNS_15PhiloxCudaStateESF_SG_ ; -- Begin function _ZN2at6native12_GLOBAL__N_143distribution_elementwise_grid_stride_kernelIdLi2EZNS0_9templates4cuda21uniform_and_transformIddPNS_17CUDAGeneratorImplEZZZNS4_16geometric_kernelIS7_EEvRNS_18TensorIteratorBaseEdT_ENKUlvE_clEvENKUlvE4_clEvEUldE_EEvSA_T1_T2_EUlP25hiprandStatePhilox4_32_10E_ZNS1_27distribution_nullary_kernelIdd15HIP_vector_typeIdLj2EES7_SJ_SE_EEvSA_SG_RKT3_T4_EUlidE_EEvlNS_15PhiloxCudaStateESF_SG_
	.p2align	8
	.type	_ZN2at6native12_GLOBAL__N_143distribution_elementwise_grid_stride_kernelIdLi2EZNS0_9templates4cuda21uniform_and_transformIddPNS_17CUDAGeneratorImplEZZZNS4_16geometric_kernelIS7_EEvRNS_18TensorIteratorBaseEdT_ENKUlvE_clEvENKUlvE4_clEvEUldE_EEvSA_T1_T2_EUlP25hiprandStatePhilox4_32_10E_ZNS1_27distribution_nullary_kernelIdd15HIP_vector_typeIdLj2EES7_SJ_SE_EEvSA_SG_RKT3_T4_EUlidE_EEvlNS_15PhiloxCudaStateESF_SG_,@function
_ZN2at6native12_GLOBAL__N_143distribution_elementwise_grid_stride_kernelIdLi2EZNS0_9templates4cuda21uniform_and_transformIddPNS_17CUDAGeneratorImplEZZZNS4_16geometric_kernelIS7_EEvRNS_18TensorIteratorBaseEdT_ENKUlvE_clEvENKUlvE4_clEvEUldE_EEvSA_T1_T2_EUlP25hiprandStatePhilox4_32_10E_ZNS1_27distribution_nullary_kernelIdd15HIP_vector_typeIdLj2EES7_SJ_SE_EEvSA_SG_RKT3_T4_EUlidE_EEvlNS_15PhiloxCudaStateESF_SG_: ; @_ZN2at6native12_GLOBAL__N_143distribution_elementwise_grid_stride_kernelIdLi2EZNS0_9templates4cuda21uniform_and_transformIddPNS_17CUDAGeneratorImplEZZZNS4_16geometric_kernelIS7_EEvRNS_18TensorIteratorBaseEdT_ENKUlvE_clEvENKUlvE4_clEvEUldE_EEvSA_T1_T2_EUlP25hiprandStatePhilox4_32_10E_ZNS1_27distribution_nullary_kernelIdd15HIP_vector_typeIdLj2EES7_SJ_SE_EEvSA_SG_RKT3_T4_EUlidE_EEvlNS_15PhiloxCudaStateESF_SG_
; %bb.0:
	s_load_dword s7, s[4:5], 0x20
	s_load_dwordx2 s[10:11], s[4:5], 0x10
	s_load_dwordx4 s[0:3], s[4:5], 0x0
	s_mov_b32 s8, 0
	s_waitcnt lgkmcnt(0)
	s_bitcmp0_b32 s7, 0
	v_pk_mov_b32 v[2:3], s[10:11], s[10:11] op_sel:[0,1]
	v_pk_mov_b32 v[14:15], s[2:3], s[2:3] op_sel:[0,1]
	s_cbranch_scc1 .LBB20_2
; %bb.1:
	v_pk_mov_b32 v[2:3], s[10:11], s[10:11] op_sel:[0,1]
	flat_load_dwordx2 v[2:3], v[2:3]
	v_pk_mov_b32 v[4:5], s[2:3], s[2:3] op_sel:[0,1]
	flat_load_dwordx2 v[14:15], v[4:5]
	s_load_dwordx2 s[2:3], s[4:5], 0x18
	s_waitcnt lgkmcnt(0)
	v_mov_b32_e32 v1, s3
	s_waitcnt vmcnt(0)
	v_add_co_u32_e32 v2, vcc, s2, v2
	v_addc_co_u32_e32 v3, vcc, v3, v1, vcc
.LBB20_2:
	s_load_dword s2, s[4:5], 0x54
	s_load_dword s18, s[4:5], 0x48
	s_waitcnt lgkmcnt(0)
	s_and_b32 s7, s2, 0xffff
	s_add_u32 s10, s0, -1
	s_mul_i32 s22, s18, s7
	s_addc_u32 s9, s1, -1
	s_lshl_b32 s23, s22, 1
	s_cmp_lg_u64 s[8:9], 0
	s_mov_b64 s[2:3], -1
	s_cbranch_scc0 .LBB20_23
; %bb.3:
	v_cvt_f32_u32_e32 v1, s23
	v_cvt_f32_ubyte0_e32 v4, 0
	s_sub_u32 s8, 0, s23
	s_subb_u32 s11, 0, 0
	v_madmk_f32 v1, v4, 0x4f800000, v1
	v_rcp_f32_e32 v1, v1
	v_mul_f32_e32 v1, 0x5f7ffffc, v1
	v_mul_f32_e32 v4, 0x2f800000, v1
	v_trunc_f32_e32 v4, v4
	v_madmk_f32 v1, v4, 0xcf800000, v1
	v_cvt_u32_f32_e32 v4, v4
	v_cvt_u32_f32_e32 v1, v1
	v_readfirstlane_b32 s12, v4
	v_readfirstlane_b32 s13, v1
	s_mul_i32 s14, s8, s12
	s_mul_hi_u32 s16, s8, s13
	s_mul_i32 s15, s11, s13
	s_add_i32 s14, s16, s14
	s_add_i32 s14, s14, s15
	s_mul_i32 s17, s8, s13
	s_mul_hi_u32 s15, s13, s14
	s_mul_i32 s16, s13, s14
	s_mul_hi_u32 s13, s13, s17
	s_add_u32 s13, s13, s16
	s_addc_u32 s15, 0, s15
	s_mul_hi_u32 s19, s12, s17
	s_mul_i32 s17, s12, s17
	s_add_u32 s13, s13, s17
	s_mul_hi_u32 s16, s12, s14
	s_addc_u32 s13, s15, s19
	s_addc_u32 s15, s16, 0
	s_mul_i32 s14, s12, s14
	s_add_u32 s13, s13, s14
	s_addc_u32 s14, 0, s15
	v_add_co_u32_e32 v1, vcc, s13, v1
	s_cmp_lg_u64 vcc, 0
	s_addc_u32 s12, s12, s14
	v_readfirstlane_b32 s14, v1
	s_mul_i32 s13, s8, s12
	s_mul_hi_u32 s15, s8, s14
	s_add_i32 s13, s15, s13
	s_mul_i32 s11, s11, s14
	s_add_i32 s13, s13, s11
	s_mul_i32 s8, s8, s14
	s_mul_hi_u32 s15, s12, s8
	s_mul_i32 s16, s12, s8
	s_mul_i32 s19, s14, s13
	s_mul_hi_u32 s8, s14, s8
	s_mul_hi_u32 s17, s14, s13
	s_add_u32 s8, s8, s19
	s_addc_u32 s14, 0, s17
	s_add_u32 s8, s8, s16
	s_mul_hi_u32 s11, s12, s13
	s_addc_u32 s8, s14, s15
	s_addc_u32 s11, s11, 0
	s_mul_i32 s13, s12, s13
	s_add_u32 s8, s8, s13
	s_addc_u32 s11, 0, s11
	v_add_co_u32_e32 v1, vcc, s8, v1
	s_cmp_lg_u64 vcc, 0
	s_addc_u32 s11, s12, s11
	s_ashr_i32 s12, s9, 31
	s_add_u32 s8, s10, s12
	s_mov_b32 s13, s12
	s_addc_u32 s9, s9, s12
	s_xor_b64 s[8:9], s[8:9], s[12:13]
	v_readfirstlane_b32 s16, v1
	s_mul_i32 s15, s8, s11
	s_mul_hi_u32 s17, s8, s16
	s_mul_hi_u32 s14, s8, s11
	s_add_u32 s15, s17, s15
	s_addc_u32 s14, 0, s14
	s_mul_hi_u32 s19, s9, s16
	s_mul_i32 s16, s9, s16
	s_add_u32 s15, s15, s16
	s_mul_hi_u32 s17, s9, s11
	s_addc_u32 s14, s14, s19
	s_addc_u32 s15, s17, 0
	s_mul_i32 s11, s9, s11
	s_add_u32 s11, s14, s11
	s_addc_u32 s14, 0, s15
	s_add_u32 s15, s11, 1
	s_addc_u32 s16, s14, 0
	s_add_u32 s17, s11, 2
	s_mul_i32 s20, s23, s14
	s_mul_hi_u32 s21, s23, s11
	s_addc_u32 s19, s14, 0
	s_add_i32 s21, s21, s20
	s_mul_i32 s20, s23, s11
	v_mov_b32_e32 v1, s20
	v_sub_co_u32_e32 v1, vcc, s8, v1
	s_cmp_lg_u64 vcc, 0
	s_subb_u32 s8, s9, s21
	v_subrev_co_u32_e32 v4, vcc, s23, v1
	s_cmp_lg_u64 vcc, 0
	s_subb_u32 s9, s8, 0
	v_readfirstlane_b32 s20, v4
	s_cmp_ge_u32 s20, s23
	s_cselect_b32 s20, -1, 0
	s_cmp_eq_u32 s9, 0
	s_cselect_b32 s9, s20, -1
	s_cmp_lg_u32 s9, 0
	s_cselect_b32 s9, s19, s16
	v_readfirstlane_b32 s16, v1
	s_cselect_b32 s15, s17, s15
	s_cmp_ge_u32 s16, s23
	s_cselect_b32 s16, -1, 0
	s_cmp_eq_u32 s8, 0
	s_cselect_b32 s8, s16, -1
	s_cmp_lg_u32 s8, 0
	s_cselect_b32 s9, s9, s14
	s_cselect_b32 s8, s15, s11
	s_xor_b64 s[8:9], s[8:9], s[12:13]
	s_sub_u32 s8, s8, s12
	s_subb_u32 s9, s9, s12
	s_cbranch_execnz .LBB20_5
.LBB20_4:
	v_cvt_f32_u32_e32 v1, s23
	s_sub_i32 s2, 0, s23
	s_mov_b32 s9, 0
	v_rcp_iflag_f32_e32 v1, v1
	v_mul_f32_e32 v1, 0x4f7ffffe, v1
	v_cvt_u32_f32_e32 v1, v1
	v_readfirstlane_b32 s3, v1
	s_mul_i32 s2, s2, s3
	s_mul_hi_u32 s2, s3, s2
	s_add_i32 s3, s3, s2
	s_mul_hi_u32 s2, s10, s3
	s_mul_i32 s8, s2, s23
	s_sub_i32 s8, s10, s8
	s_add_i32 s3, s2, 1
	s_sub_i32 s10, s8, s23
	s_cmp_ge_u32 s8, s23
	s_cselect_b32 s2, s3, s2
	s_cselect_b32 s8, s10, s8
	s_add_i32 s3, s2, 1
	s_cmp_ge_u32 s8, s23
	s_cselect_b32 s8, s3, s2
.LBB20_5:
	v_mov_b32_e32 v16, 0
	v_mov_b32_e32 v1, v16
	;; [unrolled: 1-line block ×3, first 2 shown]
	v_mad_u64_u32 v[18:19], s[2:3], s7, v4, v[0:1]
	s_add_u32 s2, s8, 1
	s_addc_u32 s3, s9, 0
	s_mul_hi_u32 s8, s18, s7
	s_mul_i32 s3, s22, s3
	s_mul_hi_u32 s9, s22, s2
	s_add_i32 s3, s9, s3
	s_mul_i32 s8, s8, s2
	s_add_i32 s3, s3, s8
	s_mul_i32 s2, s22, s2
	s_lshl_b64 s[2:3], s[2:3], 1
	v_cmp_gt_i64_e32 vcc, s[2:3], v[18:19]
	s_and_saveexec_b64 s[8:9], vcc
	s_cbranch_execz .LBB20_22
; %bb.6:
	s_load_dwordx2 s[8:9], s[4:5], 0x30
	s_load_dwordx2 s[16:17], s[4:5], 0x40
	s_load_dword s19, s[4:5], 0x38
	s_mov_b32 s4, 0x5384540f
	v_mov_b32_e32 v4, v15
	v_add_co_u32_e32 v38, vcc, s4, v14
	s_mov_b32 s4, 0x646e171e
	v_add_co_u32_e32 v39, vcc, s4, v4
	s_mov_b32 s4, 0x1715609d
	v_add_co_u32_e32 v40, vcc, s4, v14
	s_mov_b32 s4, 0xed9eba14
	v_add_co_u32_e32 v41, vcc, s4, v4
	s_mov_b32 s4, 0xdaa66d2b
	v_add_co_u32_e32 v42, vcc, s4, v14
	s_mov_b32 s4, 0x76cf5d0a
	v_add_co_u32_e32 v43, vcc, s4, v4
	s_mov_b32 s4, 0x9e3779b9
	v_alignbit_b32 v45, v3, v2, 2
	s_mov_b32 s25, 0xd2511f53
	v_add_co_u32_e32 v44, vcc, s4, v14
	v_mad_u64_u32 v[6:7], s[4:5], v45, s25, 0
	v_xor_b32_e32 v1, v7, v15
	v_xor_b32_e32 v1, v1, v19
	s_mov_b32 s26, 0xcd9e8d57
	v_mad_u64_u32 v[8:9], s[4:5], v1, s26, 0
	v_xor_b32_e32 v1, v44, v9
	v_mad_u64_u32 v[10:11], s[4:5], v18, s26, 0
	v_and_b32_e32 v34, 3, v2
	v_xor_b32_e32 v1, v1, v10
	v_xor_b32_e32 v2, v14, v11
	v_lshrrev_b32_e32 v46, 2, v3
	v_mad_u64_u32 v[12:13], s[4:5], v1, s25, 0
	v_xor_b32_e32 v2, v2, v46
	v_xor_b32_e32 v1, v43, v13
	v_mad_u64_u32 v[2:3], s[4:5], v2, s25, 0
	v_xor_b32_e32 v1, v1, v2
	v_mad_u64_u32 v[10:11], s[4:5], v1, s26, 0
	s_mov_b32 s4, 0xbb67ae85
	v_add_co_u32_e32 v47, vcc, s4, v4
	v_xor_b32_e32 v2, v47, v3
	v_xor_b32_e32 v2, v2, v6
	v_xor_b32_e32 v1, v42, v11
	v_mad_u64_u32 v[2:3], s[4:5], v2, s26, 0
	v_xor_b32_e32 v1, v1, v2
	v_mad_u64_u32 v[6:7], s[4:5], v1, s25, 0
	s_mov_b32 s4, 0x3c6ef372
	v_add_co_u32_e32 v48, vcc, s4, v14
	v_xor_b32_e32 v2, v48, v3
	v_xor_b32_e32 v2, v2, v8
	v_xor_b32_e32 v1, v41, v7
	v_mad_u64_u32 v[2:3], s[4:5], v2, s25, 0
	v_xor_b32_e32 v1, v1, v2
	v_mad_u64_u32 v[8:9], s[4:5], v1, s26, 0
	s_mov_b32 s4, 0x32370b8f
	v_add_co_u32_e32 v49, vcc, s4, v4
	v_xor_b32_e32 v2, v49, v3
	v_xor_b32_e32 v2, v2, v12
	v_xor_b32_e32 v1, v40, v9
	v_mad_u64_u32 v[2:3], s[4:5], v2, s26, 0
	v_xor_b32_e32 v1, v1, v2
	v_mad_u64_u32 v[12:13], s[4:5], v1, s25, 0
	s_mov_b32 s4, 0x78dde6e4
	v_add_co_u32_e32 v50, vcc, s4, v14
	v_xor_b32_e32 v2, v50, v3
	v_xor_b32_e32 v2, v2, v10
	v_xor_b32_e32 v1, v39, v13
	v_mad_u64_u32 v[2:3], s[4:5], v2, s25, 0
	v_xor_b32_e32 v1, v1, v2
	v_mad_u64_u32 v[10:11], s[4:5], v1, s26, 0
	s_mov_b32 s4, 0xa9066899
	v_add_co_u32_e32 v51, vcc, s4, v4
	v_xor_b32_e32 v2, v51, v3
	v_xor_b32_e32 v2, v2, v6
	v_xor_b32_e32 v1, v38, v11
	v_mad_u64_u32 v[2:3], s[4:5], v2, s26, 0
	v_xor_b32_e32 v1, v1, v2
	v_mad_u64_u32 v[6:7], s[4:5], v1, s25, 0
	s_mov_b32 s4, 0xb54cda56
	v_add_co_u32_e32 v52, vcc, s4, v14
	v_xor_b32_e32 v2, v52, v3
	v_add_co_u32_e32 v37, vcc, 0xdb3d7428, v4
	v_xor_b32_e32 v2, v2, v8
	v_xor_b32_e32 v1, v37, v7
	v_mad_u64_u32 v[2:3], s[4:5], v2, s25, 0
	v_xor_b32_e32 v1, v1, v2
	v_mad_u64_u32 v[8:9], s[4:5], v1, s26, 0
	s_mov_b32 s4, 0x1fd5c5a3
	v_add_co_u32_e32 v53, vcc, s4, v4
	v_xor_b32_e32 v1, v53, v3
	v_xor_b32_e32 v1, v1, v12
	v_mad_u64_u32 v[2:3], s[4:5], v1, s26, 0
	s_mov_b32 s4, 0xf1bbcdc8
	v_add_u32_e32 v35, 0x8ff34781, v14
	v_xor_b32_e32 v1, v9, v2
	v_add_co_u32_e32 v54, vcc, s4, v14
	v_xor_b32_e32 v2, v35, v1
	v_xor_b32_e32 v1, v54, v3
	;; [unrolled: 1-line block ×3, first 2 shown]
	v_mad_u64_u32 v[10:11], s[4:5], v1, s25, 0
	v_xor_b32_e32 v1, v11, v6
	s_waitcnt lgkmcnt(0)
	v_add_f64 v[6:7], -s[16:17], 1.0
	v_mov_b32_e32 v3, v8
	v_add_f64 v[8:9], v[6:7], -1.0
	v_mov_b32_e32 v5, v10
	v_add_f64 v[10:11], v[8:9], -v[6:7]
	v_add_f64 v[10:11], v[10:11], 1.0
	v_add_f64 v[8:9], -s[16:17], -v[8:9]
	s_mov_b32 s4, 0x55555555
	v_add_u32_e32 v36, 0x96a522ad, v15
	v_add_f64 v[8:9], v[8:9], v[10:11]
	v_frexp_mant_f64_e32 v[10:11], v[6:7]
	s_mov_b32 s5, 0x3fe55555
	v_xor_b32_e32 v4, v36, v1
	v_frexp_exp_i32_f64_e32 v1, v[6:7]
	v_cmp_gt_f64_e32 vcc, s[4:5], v[10:11]
	v_subbrev_co_u32_e32 v1, vcc, 0, v1, vcc
	v_sub_u32_e32 v10, 0, v1
	v_ldexp_f64 v[6:7], v[6:7], v10
	v_ldexp_f64 v[8:9], v[8:9], v10
	v_add_f64 v[10:11], v[6:7], -1.0
	v_add_f64 v[22:23], v[6:7], 1.0
	v_add_f64 v[12:13], v[10:11], 1.0
	v_add_f64 v[24:25], v[22:23], -1.0
	v_add_f64 v[12:13], v[6:7], -v[12:13]
	v_add_f64 v[6:7], v[6:7], -v[24:25]
	v_add_f64 v[6:7], v[8:9], v[6:7]
	v_add_f64 v[12:13], v[8:9], v[12:13]
	;; [unrolled: 1-line block ×3, first 2 shown]
	v_rcp_f64_e32 v[24:25], v[8:9]
	v_add_f64 v[20:21], v[10:11], v[12:13]
	v_add_f64 v[10:11], v[20:21], -v[10:11]
	v_add_f64 v[10:11], v[12:13], -v[10:11]
	;; [unrolled: 1-line block ×4, first 2 shown]
	v_fma_f64 v[12:13], -v[8:9], v[24:25], 1.0
	v_fmac_f64_e32 v[24:25], v[12:13], v[24:25]
	v_fma_f64 v[12:13], -v[8:9], v[24:25], 1.0
	v_fmac_f64_e32 v[24:25], v[12:13], v[24:25]
	v_mul_f64 v[12:13], v[20:21], v[24:25]
	v_mul_f64 v[22:23], v[8:9], v[12:13]
	v_fma_f64 v[26:27], v[12:13], v[8:9], -v[22:23]
	v_fmac_f64_e32 v[26:27], v[12:13], v[6:7]
	v_add_f64 v[28:29], v[22:23], v[26:27]
	v_add_f64 v[30:31], v[20:21], -v[28:29]
	v_add_f64 v[20:21], v[20:21], -v[30:31]
	;; [unrolled: 1-line block ×4, first 2 shown]
	v_add_f64 v[10:11], v[10:11], v[20:21]
	v_add_f64 v[20:21], v[22:23], -v[26:27]
	v_add_f64 v[10:11], v[20:21], v[10:11]
	v_add_f64 v[20:21], v[30:31], v[10:11]
	v_add_f64 v[22:23], v[30:31], -v[20:21]
	v_add_f64 v[10:11], v[10:11], v[22:23]
	v_mul_f64 v[22:23], v[24:25], v[20:21]
	v_mul_f64 v[26:27], v[8:9], v[22:23]
	v_fma_f64 v[8:9], v[22:23], v[8:9], -v[26:27]
	v_fmac_f64_e32 v[8:9], v[22:23], v[6:7]
	v_add_f64 v[6:7], v[26:27], v[8:9]
	v_add_f64 v[28:29], v[20:21], -v[6:7]
	v_add_f64 v[20:21], v[20:21], -v[28:29]
	;; [unrolled: 1-line block ×4, first 2 shown]
	v_add_f64 v[6:7], v[10:11], v[6:7]
	v_add_f64 v[8:9], v[26:27], -v[8:9]
	v_add_f64 v[6:7], v[8:9], v[6:7]
	v_add_f64 v[8:9], v[12:13], v[22:23]
	;; [unrolled: 1-line block ×3, first 2 shown]
	v_add_f64 v[10:11], v[8:9], -v[12:13]
	v_mul_f64 v[6:7], v[24:25], v[6:7]
	v_add_f64 v[10:11], v[22:23], -v[10:11]
	v_add_f64 v[6:7], v[10:11], v[6:7]
	v_add_f64 v[10:11], v[8:9], v[6:7]
	v_add_f64 v[8:9], v[10:11], -v[8:9]
	v_mov_b32_e32 v20, 0x6b47b09a
	v_mov_b32_e32 v21, 0x3fc38538
	s_mov_b32 s10, 0xbf559e2b
	v_add_f64 v[6:7], v[6:7], -v[8:9]
	v_mul_f64 v[8:9], v[10:11], v[10:11]
	s_mov_b32 s11, 0x3fc3ab76
	v_pk_mov_b32 v[12:13], v[20:21], v[20:21] op_sel:[0,1]
	v_mov_b32_e32 v22, 0xd7f4df2e
	v_mov_b32_e32 v23, 0x3fc7474d
	v_fmac_f64_e32 v[12:13], s[10:11], v[8:9]
	v_pk_mov_b32 v[26:27], v[22:23], v[22:23] op_sel:[0,1]
	v_mov_b32_e32 v24, 0x16291751
	v_mov_b32_e32 v25, 0x3fcc71c0
	v_fmac_f64_e32 v[26:27], v[8:9], v[12:13]
	v_pk_mov_b32 v[12:13], v[24:25], v[24:25] op_sel:[0,1]
	v_fmac_f64_e32 v[12:13], v[8:9], v[26:27]
	v_mov_b32_e32 v26, 0x9b27acf1
	v_mov_b32_e32 v27, 0x3fd24924
	v_pk_mov_b32 v[30:31], v[26:27], v[26:27] op_sel:[0,1]
	v_mov_b32_e32 v28, 0x998ef7b6
	v_mov_b32_e32 v29, 0x3fd99999
	v_fmac_f64_e32 v[30:31], v[8:9], v[12:13]
	v_pk_mov_b32 v[12:13], v[28:29], v[28:29] op_sel:[0,1]
	v_fmac_f64_e32 v[12:13], v[8:9], v[30:31]
	v_mov_b32_e32 v30, 0x55555780
	v_mov_b32_e32 v31, 0x3fe55555
	v_pk_mov_b32 v[32:33], v[30:31], v[30:31] op_sel:[0,1]
	s_mov_b32 s12, 0xfefa39ef
	v_fmac_f64_e32 v[32:33], v[8:9], v[12:13]
	v_cvt_f64_i32_e32 v[12:13], v1
	s_mov_b32 s13, 0x3fe62e42
	v_mul_f64 v[56:57], v[12:13], s[12:13]
	s_mov_b32 s14, 0x3b39803f
	v_fma_f64 v[58:59], v[12:13], s[12:13], -v[56:57]
	s_mov_b32 s15, 0x3c7abc9e
	v_fmac_f64_e32 v[58:59], s[14:15], v[12:13]
	v_add_f64 v[12:13], v[56:57], v[58:59]
	v_add_f64 v[56:57], v[12:13], -v[56:57]
	v_mul_f64 v[8:9], v[10:11], v[8:9]
	v_add_f64 v[56:57], v[58:59], -v[56:57]
	v_ldexp_f64 v[58:59], v[10:11], 1
	v_mul_f64 v[8:9], v[8:9], v[32:33]
	v_add_f64 v[10:11], v[58:59], v[8:9]
	v_add_f64 v[32:33], v[10:11], -v[58:59]
	v_ldexp_f64 v[6:7], v[6:7], 1
	v_add_f64 v[8:9], v[8:9], -v[32:33]
	v_add_f64 v[6:7], v[6:7], v[8:9]
	v_add_f64 v[8:9], v[10:11], v[6:7]
	v_add_f64 v[10:11], v[8:9], -v[10:11]
	v_add_f64 v[6:7], v[6:7], -v[10:11]
	v_add_f64 v[10:11], v[12:13], v[8:9]
	v_add_f64 v[32:33], v[10:11], -v[12:13]
	v_add_f64 v[58:59], v[10:11], -v[32:33]
	;; [unrolled: 1-line block ×4, first 2 shown]
	v_add_f64 v[8:9], v[8:9], v[12:13]
	v_add_f64 v[12:13], v[56:57], v[6:7]
	v_add_f64 v[32:33], v[12:13], -v[56:57]
	v_add_f64 v[8:9], v[12:13], v[8:9]
	v_add_f64 v[58:59], v[12:13], -v[32:33]
	v_add_f64 v[12:13], v[10:11], v[8:9]
	v_add_f64 v[56:57], v[56:57], -v[58:59]
	v_add_f64 v[6:7], v[6:7], -v[32:33]
	v_add_f64 v[10:11], v[12:13], -v[10:11]
	v_add_f64 v[6:7], v[6:7], v[56:57]
	v_add_f64 v[8:9], v[8:9], -v[10:11]
	v_add_f64 v[6:7], v[6:7], v[8:9]
	v_mov_b32_e32 v8, 0
	v_mov_b32_e32 v9, 0xfff00000
	s_xor_b32 s20, s17, 0x80000000
	v_add_f64 v[6:7], v[12:13], v[6:7]
	v_mov_b32_e32 v1, s16
	v_cmp_eq_f64_e32 vcc, s[16:17], v[8:9]
	v_cndmask_b32_e32 v1, v6, v1, vcc
	v_mov_b32_e32 v6, s20
	v_cndmask_b32_e32 v6, v7, v6, vcc
	v_mov_b32_e32 v7, 0x7ff80000
	v_cmp_ngt_f64_e64 vcc, s[16:17], 1.0
	v_cndmask_b32_e32 v6, v7, v6, vcc
	v_cmp_nge_f64_e64 vcc, s[16:17], 1.0
	v_cndmask_b32_e32 v32, 0, v1, vcc
	v_cmp_neq_f64_e64 vcc, s[16:17], 1.0
	s_mul_i32 s16, s6, s7
	v_add_u32_e32 v1, s16, v0
	s_mul_i32 s16, s18, s19
	s_add_i32 s6, s6, s18
	s_mul_i32 s16, s16, s7
	s_mul_i32 s6, s6, s7
	s_mov_b32 s24, 0
	v_mov_b32_e32 v55, 0xfff00000
	s_lshl_b32 s27, s16, 1
	v_add_u32_e32 v0, s6, v0
	s_mov_b32 s16, 0
	v_cndmask_b32_e32 v33, v55, v6, vcc
	v_mul_lo_u32 v56, s19, v1
	v_mul_lo_u32 v57, s19, v0
	s_mov_b64 s[6:7], 0
	s_mov_b32 s17, 0x7ff00000
	v_mov_b32_e32 v58, 0x3ff00000
	s_mov_b32 s28, s24
	v_mov_b32_e32 v59, v18
	v_mov_b32_e32 v60, v19
	s_branch .LBB20_8
.LBB20_7:                               ;   in Loop: Header=BB20_8 Depth=1
	s_or_b64 exec, exec, s[18:19]
	v_add_co_u32_e32 v18, vcc, s23, v18
	v_addc_co_u32_e32 v19, vcc, 0, v19, vcc
	v_mov_b32_e32 v9, v0
	s_add_i32 s28, s28, s27
	v_cmp_le_i64_e32 vcc, s[2:3], v[18:19]
	v_pk_mov_b32 v[2:3], v[6:7], v[6:7] op_sel:[0,1]
	s_or_b64 s[6:7], vcc, s[6:7]
	v_pk_mov_b32 v[4:5], v[8:9], v[8:9] op_sel:[0,1]
	s_barrier
	s_andn2_b64 exec, exec, s[6:7]
	s_cbranch_execz .LBB20_22
.LBB20_8:                               ; =>This Inner Loop Header: Depth=1
	v_add_co_u32_e32 v45, vcc, 1, v45
	v_cndmask_b32_e64 v0, 0, 1, vcc
	v_addc_co_u32_e32 v46, vcc, 0, v46, vcc
	v_cmp_eq_u32_e32 vcc, 0, v46
	v_cndmask_b32_e32 v0, 0, v0, vcc
	v_add_u32_e32 v59, v0, v59
	v_cmp_eq_u32_e32 vcc, 0, v59
	v_cndmask_b32_e32 v0, 0, v0, vcc
	v_add_u32_e32 v60, v0, v60
	v_mad_u64_u32 v[0:1], s[18:19], v45, s25, 0
	v_mad_u64_u32 v[6:7], s[18:19], v59, s26, 0
	v_xor_b32_e32 v1, v1, v15
	v_xor_b32_e32 v7, v7, v14
	v_xor_b32_e32 v1, v60, v1
	v_xor_b32_e32 v7, v46, v7
	v_mad_u64_u32 v[10:11], s[18:19], v1, s26, 0
	v_mad_u64_u32 v[8:9], s[18:19], v7, s25, 0
	v_xor_b32_e32 v1, v44, v11
	v_xor_b32_e32 v1, v1, v6
	v_xor_b32_e32 v6, v47, v9
	v_xor_b32_e32 v6, v6, v0
	;; [unrolled: 6-line block ×10, first 2 shown]
	v_mov_b32_e32 v7, v12
	v_mov_b32_e32 v8, v13
	v_cmp_lt_i32_e32 vcc, 1, v34
	s_and_saveexec_b64 s[18:19], vcc
	s_xor_b64 s[18:19], exec, s[18:19]
	s_cbranch_execnz .LBB20_14
; %bb.9:                                ;   in Loop: Header=BB20_8 Depth=1
	s_andn2_saveexec_b64 s[18:19], s[18:19]
	s_cbranch_execnz .LBB20_19
.LBB20_10:                              ;   in Loop: Header=BB20_8 Depth=1
	s_or_b64 exec, exec, s[18:19]
	v_cmp_gt_i64_e32 vcc, s[0:1], v[18:19]
	s_and_saveexec_b64 s[18:19], vcc
	s_cbranch_execz .LBB20_12
.LBB20_11:                              ;   in Loop: Header=BB20_8 Depth=1
	v_lshrrev_b32_e32 v1, 11, v3
	v_cvt_f64_u32_e32 v[10:11], v1
	v_ldexp_f64 v[10:11], v[10:11], 32
	v_cvt_f64_u32_e32 v[2:3], v2
	v_add_f64 v[2:3], v[10:11], v[2:3]
	v_mov_b32_e32 v10, 0
	v_mov_b32_e32 v11, 0x3ca00000
	v_fmac_f64_e32 v[10:11], 0x3ca00000, v[2:3]
	v_frexp_mant_f64_e32 v[2:3], v[10:11]
	v_cmp_gt_f64_e32 vcc, s[4:5], v[2:3]
	v_cndmask_b32_e64 v17, v58, 2.0, vcc
	v_frexp_exp_i32_f64_e32 v12, v[10:11]
	v_mul_f64 v[2:3], v[2:3], v[16:17]
	v_subbrev_co_u32_e32 v17, vcc, 0, v12, vcc
	v_add_f64 v[12:13], v[2:3], 1.0
	v_rcp_f64_e32 v[62:63], v[12:13]
	v_add_f64 v[66:67], v[12:13], -1.0
	v_add_f64 v[64:65], v[2:3], -1.0
	v_add_f64 v[2:3], v[2:3], -v[66:67]
	v_fma_f64 v[66:67], -v[12:13], v[62:63], 1.0
	v_fmac_f64_e32 v[62:63], v[66:67], v[62:63]
	v_fma_f64 v[66:67], -v[12:13], v[62:63], 1.0
	v_fmac_f64_e32 v[62:63], v[66:67], v[62:63]
	v_mul_f64 v[66:67], v[64:65], v[62:63]
	v_mul_f64 v[68:69], v[12:13], v[66:67]
	v_fma_f64 v[12:13], v[66:67], v[12:13], -v[68:69]
	v_fmac_f64_e32 v[12:13], v[66:67], v[2:3]
	v_add_f64 v[2:3], v[68:69], v[12:13]
	v_add_f64 v[70:71], v[64:65], -v[2:3]
	v_add_f64 v[68:69], v[2:3], -v[68:69]
	;; [unrolled: 1-line block ×5, first 2 shown]
	v_add_f64 v[2:3], v[12:13], v[2:3]
	v_add_f64 v[2:3], v[70:71], v[2:3]
	v_mul_f64 v[2:3], v[62:63], v[2:3]
	v_add_f64 v[12:13], v[66:67], v[2:3]
	v_add_f64 v[62:63], v[12:13], -v[66:67]
	v_add_f64 v[2:3], v[2:3], -v[62:63]
	v_mul_f64 v[62:63], v[12:13], v[12:13]
	v_pk_mov_b32 v[64:65], v[20:21], v[20:21] op_sel:[0,1]
	v_fmac_f64_e32 v[64:65], s[10:11], v[62:63]
	v_pk_mov_b32 v[66:67], v[22:23], v[22:23] op_sel:[0,1]
	v_fmac_f64_e32 v[66:67], v[62:63], v[64:65]
	;; [unrolled: 2-line block ×6, first 2 shown]
	v_ldexp_f64 v[64:65], v[12:13], 1
	v_mul_f64 v[12:13], v[12:13], v[62:63]
	v_mul_f64 v[12:13], v[12:13], v[66:67]
	v_add_f64 v[62:63], v[64:65], v[12:13]
	v_add_f64 v[64:65], v[62:63], -v[64:65]
	v_ldexp_f64 v[2:3], v[2:3], 1
	v_add_f64 v[12:13], v[12:13], -v[64:65]
	v_add_f64 v[2:3], v[2:3], v[12:13]
	v_add_f64 v[12:13], v[62:63], v[2:3]
	v_add_f64 v[62:63], v[12:13], -v[62:63]
	v_add_f64 v[2:3], v[2:3], -v[62:63]
	v_cvt_f64_i32_e32 v[62:63], v17
	v_mul_f64 v[64:65], v[62:63], s[12:13]
	v_fma_f64 v[66:67], v[62:63], s[12:13], -v[64:65]
	v_fmac_f64_e32 v[66:67], s[14:15], v[62:63]
	v_add_f64 v[62:63], v[64:65], v[66:67]
	v_add_f64 v[64:65], v[62:63], -v[64:65]
	v_add_f64 v[64:65], v[66:67], -v[64:65]
	v_add_f64 v[66:67], v[62:63], v[12:13]
	v_add_f64 v[68:69], v[66:67], -v[62:63]
	v_add_f64 v[70:71], v[66:67], -v[68:69]
	;; [unrolled: 1-line block ×4, first 2 shown]
	v_add_f64 v[12:13], v[12:13], v[62:63]
	v_add_f64 v[62:63], v[64:65], v[2:3]
	v_add_f64 v[68:69], v[62:63], -v[64:65]
	v_add_f64 v[70:71], v[62:63], -v[68:69]
	v_add_f64 v[12:13], v[62:63], v[12:13]
	v_add_f64 v[64:65], v[64:65], -v[70:71]
	v_add_f64 v[2:3], v[2:3], -v[68:69]
	v_add_f64 v[62:63], v[66:67], v[12:13]
	v_add_f64 v[2:3], v[2:3], v[64:65]
	v_add_f64 v[64:65], v[62:63], -v[66:67]
	v_add_f64 v[12:13], v[12:13], -v[64:65]
	v_add_f64 v[2:3], v[2:3], v[12:13]
	v_add_f64 v[2:3], v[62:63], v[2:3]
	v_cmp_eq_f64_e32 vcc, s[16:17], v[10:11]
	v_cndmask_b32_e32 v2, v2, v10, vcc
	v_cndmask_b32_e32 v3, v3, v11, vcc
	v_cmp_neq_f64_e32 vcc, 0, v[10:11]
	v_cndmask_b32_e32 v3, v55, v3, vcc
	v_cndmask_b32_e32 v2, 0, v2, vcc
	v_div_scale_f64 v[10:11], s[20:21], v[32:33], v[32:33], v[2:3]
	v_rcp_f64_e32 v[12:13], v[10:11]
	v_add_u32_e32 v1, s28, v56
	v_ashrrev_i32_e32 v9, 31, v1
	v_mov_b32_e32 v61, s9
	v_fma_f64 v[64:65], -v[10:11], v[12:13], 1.0
	v_add_co_u32_e32 v62, vcc, s8, v1
	v_fmac_f64_e32 v[12:13], v[12:13], v[64:65]
	v_addc_co_u32_e32 v63, vcc, v61, v9, vcc
	v_fma_f64 v[64:65], -v[10:11], v[12:13], 1.0
	v_fmac_f64_e32 v[12:13], v[12:13], v[64:65]
	v_div_scale_f64 v[64:65], vcc, v[2:3], v[32:33], v[2:3]
	v_mul_f64 v[66:67], v[64:65], v[12:13]
	v_fma_f64 v[10:11], -v[10:11], v[66:67], v[64:65]
	s_nop 1
	v_div_fmas_f64 v[10:11], v[10:11], v[12:13], v[66:67]
	v_div_fixup_f64 v[2:3], v[10:11], v[32:33], v[2:3]
	v_ceil_f64_e32 v[2:3], v[2:3]
	global_store_dwordx2 v[62:63], v[2:3], off
.LBB20_12:                              ;   in Loop: Header=BB20_8 Depth=1
	s_or_b64 exec, exec, s[18:19]
	v_mov_b32_e32 v1, s24
	v_add_co_u32_e32 v2, vcc, s22, v18
	v_addc_co_u32_e32 v3, vcc, v1, v19, vcc
	v_cmp_gt_i64_e32 vcc, s[0:1], v[2:3]
	s_and_saveexec_b64 s[18:19], vcc
	s_cbranch_execz .LBB20_7
; %bb.13:                               ;   in Loop: Header=BB20_8 Depth=1
	v_lshrrev_b32_e32 v1, 11, v5
	v_cvt_f64_u32_e32 v[2:3], v1
	v_ldexp_f64 v[2:3], v[2:3], 32
	v_cvt_f64_u32_e32 v[4:5], v4
	v_add_f64 v[2:3], v[2:3], v[4:5]
	v_mov_b32_e32 v4, 0
	v_mov_b32_e32 v5, 0x3ca00000
	v_fmac_f64_e32 v[4:5], 0x3ca00000, v[2:3]
	v_frexp_mant_f64_e32 v[2:3], v[4:5]
	v_cmp_gt_f64_e32 vcc, s[4:5], v[2:3]
	v_cndmask_b32_e64 v17, v58, 2.0, vcc
	v_frexp_exp_i32_f64_e32 v10, v[4:5]
	v_mul_f64 v[2:3], v[2:3], v[16:17]
	v_subbrev_co_u32_e32 v17, vcc, 0, v10, vcc
	v_add_f64 v[10:11], v[2:3], 1.0
	v_rcp_f64_e32 v[12:13], v[10:11]
	v_add_f64 v[64:65], v[10:11], -1.0
	v_add_f64 v[62:63], v[2:3], -1.0
	v_add_f64 v[2:3], v[2:3], -v[64:65]
	v_fma_f64 v[64:65], -v[10:11], v[12:13], 1.0
	v_fmac_f64_e32 v[12:13], v[64:65], v[12:13]
	v_fma_f64 v[64:65], -v[10:11], v[12:13], 1.0
	v_fmac_f64_e32 v[12:13], v[64:65], v[12:13]
	v_mul_f64 v[64:65], v[62:63], v[12:13]
	v_mul_f64 v[66:67], v[10:11], v[64:65]
	v_fma_f64 v[10:11], v[64:65], v[10:11], -v[66:67]
	v_fmac_f64_e32 v[10:11], v[64:65], v[2:3]
	v_add_f64 v[2:3], v[66:67], v[10:11]
	v_add_f64 v[68:69], v[62:63], -v[2:3]
	v_add_f64 v[66:67], v[2:3], -v[66:67]
	;; [unrolled: 1-line block ×5, first 2 shown]
	v_add_f64 v[2:3], v[10:11], v[2:3]
	v_add_f64 v[2:3], v[68:69], v[2:3]
	v_mul_f64 v[2:3], v[12:13], v[2:3]
	v_add_f64 v[10:11], v[64:65], v[2:3]
	v_add_f64 v[12:13], v[10:11], -v[64:65]
	v_add_f64 v[2:3], v[2:3], -v[12:13]
	v_mul_f64 v[12:13], v[10:11], v[10:11]
	v_pk_mov_b32 v[62:63], v[20:21], v[20:21] op_sel:[0,1]
	v_fmac_f64_e32 v[62:63], s[10:11], v[12:13]
	v_pk_mov_b32 v[64:65], v[22:23], v[22:23] op_sel:[0,1]
	v_fmac_f64_e32 v[64:65], v[12:13], v[62:63]
	;; [unrolled: 2-line block ×6, first 2 shown]
	v_ldexp_f64 v[62:63], v[10:11], 1
	v_mul_f64 v[10:11], v[10:11], v[12:13]
	v_mul_f64 v[10:11], v[10:11], v[64:65]
	v_add_f64 v[12:13], v[62:63], v[10:11]
	v_add_f64 v[62:63], v[12:13], -v[62:63]
	v_ldexp_f64 v[2:3], v[2:3], 1
	v_add_f64 v[10:11], v[10:11], -v[62:63]
	v_add_f64 v[2:3], v[2:3], v[10:11]
	v_add_f64 v[10:11], v[12:13], v[2:3]
	v_add_f64 v[12:13], v[10:11], -v[12:13]
	v_add_f64 v[2:3], v[2:3], -v[12:13]
	v_cvt_f64_i32_e32 v[12:13], v17
	v_mul_f64 v[62:63], v[12:13], s[12:13]
	v_fma_f64 v[64:65], v[12:13], s[12:13], -v[62:63]
	v_fmac_f64_e32 v[64:65], s[14:15], v[12:13]
	v_add_f64 v[12:13], v[62:63], v[64:65]
	v_add_f64 v[62:63], v[12:13], -v[62:63]
	v_add_f64 v[62:63], v[64:65], -v[62:63]
	v_add_f64 v[64:65], v[12:13], v[10:11]
	v_add_f64 v[66:67], v[64:65], -v[12:13]
	v_add_f64 v[68:69], v[64:65], -v[66:67]
	;; [unrolled: 1-line block ×4, first 2 shown]
	v_add_f64 v[10:11], v[10:11], v[12:13]
	v_add_f64 v[12:13], v[62:63], v[2:3]
	v_add_f64 v[66:67], v[12:13], -v[62:63]
	v_add_f64 v[68:69], v[12:13], -v[66:67]
	v_add_f64 v[10:11], v[12:13], v[10:11]
	v_add_f64 v[62:63], v[62:63], -v[68:69]
	v_add_f64 v[2:3], v[2:3], -v[66:67]
	v_add_f64 v[12:13], v[64:65], v[10:11]
	v_add_f64 v[2:3], v[2:3], v[62:63]
	v_add_f64 v[62:63], v[12:13], -v[64:65]
	v_add_f64 v[10:11], v[10:11], -v[62:63]
	v_add_f64 v[2:3], v[2:3], v[10:11]
	v_add_f64 v[2:3], v[12:13], v[2:3]
	v_cmp_eq_f64_e32 vcc, s[16:17], v[4:5]
	v_cndmask_b32_e32 v2, v2, v4, vcc
	v_cndmask_b32_e32 v3, v3, v5, vcc
	v_cmp_neq_f64_e32 vcc, 0, v[4:5]
	v_cndmask_b32_e32 v3, v55, v3, vcc
	v_cndmask_b32_e32 v2, 0, v2, vcc
	v_div_scale_f64 v[4:5], s[20:21], v[32:33], v[32:33], v[2:3]
	v_rcp_f64_e32 v[10:11], v[4:5]
	v_add_u32_e32 v1, s28, v57
	v_ashrrev_i32_e32 v9, 31, v1
	v_mov_b32_e32 v61, s9
	v_fma_f64 v[62:63], -v[4:5], v[10:11], 1.0
	v_add_co_u32_e32 v12, vcc, s8, v1
	v_fmac_f64_e32 v[10:11], v[10:11], v[62:63]
	v_addc_co_u32_e32 v13, vcc, v61, v9, vcc
	v_fma_f64 v[62:63], -v[4:5], v[10:11], 1.0
	v_fmac_f64_e32 v[10:11], v[10:11], v[62:63]
	v_div_scale_f64 v[62:63], vcc, v[2:3], v[32:33], v[2:3]
	v_mul_f64 v[64:65], v[62:63], v[10:11]
	v_fma_f64 v[4:5], -v[4:5], v[64:65], v[62:63]
	s_nop 1
	v_div_fmas_f64 v[4:5], v[4:5], v[10:11], v[64:65]
	v_div_fixup_f64 v[2:3], v[4:5], v[32:33], v[2:3]
	v_ceil_f64_e32 v[2:3], v[2:3]
	global_store_dwordx2 v[12:13], v[2:3], off
	s_branch .LBB20_7
.LBB20_14:                              ;   in Loop: Header=BB20_8 Depth=1
	v_cmp_lt_i32_e32 vcc, 2, v34
	s_and_saveexec_b64 s[20:21], vcc
	s_xor_b64 s[20:21], exec, s[20:21]
; %bb.15:                               ;   in Loop: Header=BB20_8 Depth=1
	v_mov_b32_e32 v10, v5
	v_mov_b32_e32 v11, v6
	v_pk_mov_b32 v[2:3], v[10:11], v[10:11] op_sel:[0,1]
	v_pk_mov_b32 v[4:5], v[12:13], v[12:13] op_sel:[0,1]
                                        ; implicit-def: $vgpr12_vgpr13
; %bb.16:                               ;   in Loop: Header=BB20_8 Depth=1
	s_andn2_saveexec_b64 s[20:21], s[20:21]
; %bb.17:                               ;   in Loop: Header=BB20_8 Depth=1
	v_mov_b32_e32 v2, v4
	v_mov_b32_e32 v3, v5
	;; [unrolled: 1-line block ×4, first 2 shown]
; %bb.18:                               ;   in Loop: Header=BB20_8 Depth=1
	s_or_b64 exec, exec, s[20:21]
	s_andn2_saveexec_b64 s[18:19], s[18:19]
	s_cbranch_execz .LBB20_10
.LBB20_19:                              ;   in Loop: Header=BB20_8 Depth=1
	v_cmp_eq_u32_e32 vcc, 1, v34
	s_and_saveexec_b64 s[20:21], vcc
; %bb.20:                               ;   in Loop: Header=BB20_8 Depth=1
	v_mov_b32_e32 v2, v3
	v_mov_b32_e32 v3, v4
	;; [unrolled: 1-line block ×4, first 2 shown]
; %bb.21:                               ;   in Loop: Header=BB20_8 Depth=1
	s_or_b64 exec, exec, s[20:21]
	s_or_b64 exec, exec, s[18:19]
	v_cmp_gt_i64_e32 vcc, s[0:1], v[18:19]
	s_and_saveexec_b64 s[18:19], vcc
	s_cbranch_execnz .LBB20_11
	s_branch .LBB20_12
.LBB20_22:
	s_endpgm
.LBB20_23:
                                        ; implicit-def: $sgpr8_sgpr9
	s_andn2_b64 vcc, exec, s[2:3]
	s_cbranch_vccz .LBB20_4
	s_branch .LBB20_5
	.section	.rodata,"a",@progbits
	.p2align	6, 0x0
	.amdhsa_kernel _ZN2at6native12_GLOBAL__N_143distribution_elementwise_grid_stride_kernelIdLi2EZNS0_9templates4cuda21uniform_and_transformIddPNS_17CUDAGeneratorImplEZZZNS4_16geometric_kernelIS7_EEvRNS_18TensorIteratorBaseEdT_ENKUlvE_clEvENKUlvE4_clEvEUldE_EEvSA_T1_T2_EUlP25hiprandStatePhilox4_32_10E_ZNS1_27distribution_nullary_kernelIdd15HIP_vector_typeIdLj2EES7_SJ_SE_EEvSA_SG_RKT3_T4_EUlidE_EEvlNS_15PhiloxCudaStateESF_SG_
		.amdhsa_group_segment_fixed_size 0
		.amdhsa_private_segment_fixed_size 0
		.amdhsa_kernarg_size 328
		.amdhsa_user_sgpr_count 6
		.amdhsa_user_sgpr_private_segment_buffer 1
		.amdhsa_user_sgpr_dispatch_ptr 0
		.amdhsa_user_sgpr_queue_ptr 0
		.amdhsa_user_sgpr_kernarg_segment_ptr 1
		.amdhsa_user_sgpr_dispatch_id 0
		.amdhsa_user_sgpr_flat_scratch_init 0
		.amdhsa_user_sgpr_kernarg_preload_length 0
		.amdhsa_user_sgpr_kernarg_preload_offset 0
		.amdhsa_user_sgpr_private_segment_size 0
		.amdhsa_uses_dynamic_stack 0
		.amdhsa_system_sgpr_private_segment_wavefront_offset 0
		.amdhsa_system_sgpr_workgroup_id_x 1
		.amdhsa_system_sgpr_workgroup_id_y 0
		.amdhsa_system_sgpr_workgroup_id_z 0
		.amdhsa_system_sgpr_workgroup_info 0
		.amdhsa_system_vgpr_workitem_id 0
		.amdhsa_next_free_vgpr 72
		.amdhsa_next_free_sgpr 29
		.amdhsa_accum_offset 72
		.amdhsa_reserve_vcc 1
		.amdhsa_reserve_flat_scratch 0
		.amdhsa_float_round_mode_32 0
		.amdhsa_float_round_mode_16_64 0
		.amdhsa_float_denorm_mode_32 3
		.amdhsa_float_denorm_mode_16_64 3
		.amdhsa_dx10_clamp 1
		.amdhsa_ieee_mode 1
		.amdhsa_fp16_overflow 0
		.amdhsa_tg_split 0
		.amdhsa_exception_fp_ieee_invalid_op 0
		.amdhsa_exception_fp_denorm_src 0
		.amdhsa_exception_fp_ieee_div_zero 0
		.amdhsa_exception_fp_ieee_overflow 0
		.amdhsa_exception_fp_ieee_underflow 0
		.amdhsa_exception_fp_ieee_inexact 0
		.amdhsa_exception_int_div_zero 0
	.end_amdhsa_kernel
	.section	.text._ZN2at6native12_GLOBAL__N_143distribution_elementwise_grid_stride_kernelIdLi2EZNS0_9templates4cuda21uniform_and_transformIddPNS_17CUDAGeneratorImplEZZZNS4_16geometric_kernelIS7_EEvRNS_18TensorIteratorBaseEdT_ENKUlvE_clEvENKUlvE4_clEvEUldE_EEvSA_T1_T2_EUlP25hiprandStatePhilox4_32_10E_ZNS1_27distribution_nullary_kernelIdd15HIP_vector_typeIdLj2EES7_SJ_SE_EEvSA_SG_RKT3_T4_EUlidE_EEvlNS_15PhiloxCudaStateESF_SG_,"axG",@progbits,_ZN2at6native12_GLOBAL__N_143distribution_elementwise_grid_stride_kernelIdLi2EZNS0_9templates4cuda21uniform_and_transformIddPNS_17CUDAGeneratorImplEZZZNS4_16geometric_kernelIS7_EEvRNS_18TensorIteratorBaseEdT_ENKUlvE_clEvENKUlvE4_clEvEUldE_EEvSA_T1_T2_EUlP25hiprandStatePhilox4_32_10E_ZNS1_27distribution_nullary_kernelIdd15HIP_vector_typeIdLj2EES7_SJ_SE_EEvSA_SG_RKT3_T4_EUlidE_EEvlNS_15PhiloxCudaStateESF_SG_,comdat
.Lfunc_end20:
	.size	_ZN2at6native12_GLOBAL__N_143distribution_elementwise_grid_stride_kernelIdLi2EZNS0_9templates4cuda21uniform_and_transformIddPNS_17CUDAGeneratorImplEZZZNS4_16geometric_kernelIS7_EEvRNS_18TensorIteratorBaseEdT_ENKUlvE_clEvENKUlvE4_clEvEUldE_EEvSA_T1_T2_EUlP25hiprandStatePhilox4_32_10E_ZNS1_27distribution_nullary_kernelIdd15HIP_vector_typeIdLj2EES7_SJ_SE_EEvSA_SG_RKT3_T4_EUlidE_EEvlNS_15PhiloxCudaStateESF_SG_, .Lfunc_end20-_ZN2at6native12_GLOBAL__N_143distribution_elementwise_grid_stride_kernelIdLi2EZNS0_9templates4cuda21uniform_and_transformIddPNS_17CUDAGeneratorImplEZZZNS4_16geometric_kernelIS7_EEvRNS_18TensorIteratorBaseEdT_ENKUlvE_clEvENKUlvE4_clEvEUldE_EEvSA_T1_T2_EUlP25hiprandStatePhilox4_32_10E_ZNS1_27distribution_nullary_kernelIdd15HIP_vector_typeIdLj2EES7_SJ_SE_EEvSA_SG_RKT3_T4_EUlidE_EEvlNS_15PhiloxCudaStateESF_SG_
                                        ; -- End function
	.section	.AMDGPU.csdata,"",@progbits
; Kernel info:
; codeLenInByte = 4772
; NumSgprs: 33
; NumVgprs: 72
; NumAgprs: 0
; TotalNumVgprs: 72
; ScratchSize: 0
; MemoryBound: 0
; FloatMode: 240
; IeeeMode: 1
; LDSByteSize: 0 bytes/workgroup (compile time only)
; SGPRBlocks: 4
; VGPRBlocks: 8
; NumSGPRsForWavesPerEU: 33
; NumVGPRsForWavesPerEU: 72
; AccumOffset: 72
; Occupancy: 7
; WaveLimiterHint : 0
; COMPUTE_PGM_RSRC2:SCRATCH_EN: 0
; COMPUTE_PGM_RSRC2:USER_SGPR: 6
; COMPUTE_PGM_RSRC2:TRAP_HANDLER: 0
; COMPUTE_PGM_RSRC2:TGID_X_EN: 1
; COMPUTE_PGM_RSRC2:TGID_Y_EN: 0
; COMPUTE_PGM_RSRC2:TGID_Z_EN: 0
; COMPUTE_PGM_RSRC2:TIDIG_COMP_CNT: 0
; COMPUTE_PGM_RSRC3_GFX90A:ACCUM_OFFSET: 17
; COMPUTE_PGM_RSRC3_GFX90A:TG_SPLIT: 0
	.section	.text._ZN2at6native12_GLOBAL__N_143distribution_elementwise_grid_stride_kernelIdLi2EZNS0_9templates4cuda21uniform_and_transformIddPNS_17CUDAGeneratorImplEZZZNS4_16geometric_kernelIS7_EEvRNS_18TensorIteratorBaseEdT_ENKUlvE_clEvENKUlvE4_clEvEUldE_EEvSA_T1_T2_EUlP25hiprandStatePhilox4_32_10E_ZNS1_27distribution_nullary_kernelIdd15HIP_vector_typeIdLj2EES7_SJ_SE_EEvSA_SG_RKT3_T4_EUlidE0_EEvlNS_15PhiloxCudaStateESF_SG_,"axG",@progbits,_ZN2at6native12_GLOBAL__N_143distribution_elementwise_grid_stride_kernelIdLi2EZNS0_9templates4cuda21uniform_and_transformIddPNS_17CUDAGeneratorImplEZZZNS4_16geometric_kernelIS7_EEvRNS_18TensorIteratorBaseEdT_ENKUlvE_clEvENKUlvE4_clEvEUldE_EEvSA_T1_T2_EUlP25hiprandStatePhilox4_32_10E_ZNS1_27distribution_nullary_kernelIdd15HIP_vector_typeIdLj2EES7_SJ_SE_EEvSA_SG_RKT3_T4_EUlidE0_EEvlNS_15PhiloxCudaStateESF_SG_,comdat
	.globl	_ZN2at6native12_GLOBAL__N_143distribution_elementwise_grid_stride_kernelIdLi2EZNS0_9templates4cuda21uniform_and_transformIddPNS_17CUDAGeneratorImplEZZZNS4_16geometric_kernelIS7_EEvRNS_18TensorIteratorBaseEdT_ENKUlvE_clEvENKUlvE4_clEvEUldE_EEvSA_T1_T2_EUlP25hiprandStatePhilox4_32_10E_ZNS1_27distribution_nullary_kernelIdd15HIP_vector_typeIdLj2EES7_SJ_SE_EEvSA_SG_RKT3_T4_EUlidE0_EEvlNS_15PhiloxCudaStateESF_SG_ ; -- Begin function _ZN2at6native12_GLOBAL__N_143distribution_elementwise_grid_stride_kernelIdLi2EZNS0_9templates4cuda21uniform_and_transformIddPNS_17CUDAGeneratorImplEZZZNS4_16geometric_kernelIS7_EEvRNS_18TensorIteratorBaseEdT_ENKUlvE_clEvENKUlvE4_clEvEUldE_EEvSA_T1_T2_EUlP25hiprandStatePhilox4_32_10E_ZNS1_27distribution_nullary_kernelIdd15HIP_vector_typeIdLj2EES7_SJ_SE_EEvSA_SG_RKT3_T4_EUlidE0_EEvlNS_15PhiloxCudaStateESF_SG_
	.p2align	8
	.type	_ZN2at6native12_GLOBAL__N_143distribution_elementwise_grid_stride_kernelIdLi2EZNS0_9templates4cuda21uniform_and_transformIddPNS_17CUDAGeneratorImplEZZZNS4_16geometric_kernelIS7_EEvRNS_18TensorIteratorBaseEdT_ENKUlvE_clEvENKUlvE4_clEvEUldE_EEvSA_T1_T2_EUlP25hiprandStatePhilox4_32_10E_ZNS1_27distribution_nullary_kernelIdd15HIP_vector_typeIdLj2EES7_SJ_SE_EEvSA_SG_RKT3_T4_EUlidE0_EEvlNS_15PhiloxCudaStateESF_SG_,@function
_ZN2at6native12_GLOBAL__N_143distribution_elementwise_grid_stride_kernelIdLi2EZNS0_9templates4cuda21uniform_and_transformIddPNS_17CUDAGeneratorImplEZZZNS4_16geometric_kernelIS7_EEvRNS_18TensorIteratorBaseEdT_ENKUlvE_clEvENKUlvE4_clEvEUldE_EEvSA_T1_T2_EUlP25hiprandStatePhilox4_32_10E_ZNS1_27distribution_nullary_kernelIdd15HIP_vector_typeIdLj2EES7_SJ_SE_EEvSA_SG_RKT3_T4_EUlidE0_EEvlNS_15PhiloxCudaStateESF_SG_: ; @_ZN2at6native12_GLOBAL__N_143distribution_elementwise_grid_stride_kernelIdLi2EZNS0_9templates4cuda21uniform_and_transformIddPNS_17CUDAGeneratorImplEZZZNS4_16geometric_kernelIS7_EEvRNS_18TensorIteratorBaseEdT_ENKUlvE_clEvENKUlvE4_clEvEUldE_EEvSA_T1_T2_EUlP25hiprandStatePhilox4_32_10E_ZNS1_27distribution_nullary_kernelIdd15HIP_vector_typeIdLj2EES7_SJ_SE_EEvSA_SG_RKT3_T4_EUlidE0_EEvlNS_15PhiloxCudaStateESF_SG_
; %bb.0:
	s_load_dword s2, s[4:5], 0x20
	s_load_dwordx2 s[0:1], s[4:5], 0x10
	s_load_dwordx4 s[24:27], s[4:5], 0x0
	s_waitcnt lgkmcnt(0)
	s_bitcmp0_b32 s2, 0
	s_mov_b32 s2, 0
	v_pk_mov_b32 v[2:3], s[0:1], s[0:1] op_sel:[0,1]
	v_pk_mov_b32 v[12:13], s[26:27], s[26:27] op_sel:[0,1]
	s_cbranch_scc1 .LBB21_2
; %bb.1:
	v_pk_mov_b32 v[2:3], s[0:1], s[0:1] op_sel:[0,1]
	flat_load_dwordx2 v[2:3], v[2:3]
	v_pk_mov_b32 v[4:5], s[26:27], s[26:27] op_sel:[0,1]
	flat_load_dwordx2 v[12:13], v[4:5]
	s_load_dwordx2 s[0:1], s[4:5], 0x18
	s_waitcnt lgkmcnt(0)
	v_mov_b32_e32 v1, s1
	s_waitcnt vmcnt(0)
	v_add_co_u32_e32 v2, vcc, s0, v2
	v_addc_co_u32_e32 v3, vcc, v3, v1, vcc
.LBB21_2:
	s_load_dword s0, s[4:5], 0x154
	s_load_dword s7, s[4:5], 0x148
	s_waitcnt lgkmcnt(0)
	s_and_b32 s8, s0, 0xffff
	s_add_u32 s9, s24, -1
	s_mul_i32 s33, s7, s8
	s_addc_u32 s3, s25, -1
	s_lshl_b32 s68, s33, 1
	s_cmp_lg_u64 s[2:3], 0
	s_mov_b64 s[0:1], -1
	s_cbranch_scc0 .LBB21_51
; %bb.3:
	v_cvt_f32_u32_e32 v1, s68
	v_cvt_f32_ubyte0_e32 v4, 0
	s_sub_u32 s2, 0, s68
	s_subb_u32 s10, 0, 0
	v_madmk_f32 v1, v4, 0x4f800000, v1
	v_rcp_f32_e32 v1, v1
	v_mul_f32_e32 v1, 0x5f7ffffc, v1
	v_mul_f32_e32 v4, 0x2f800000, v1
	v_trunc_f32_e32 v4, v4
	v_madmk_f32 v1, v4, 0xcf800000, v1
	v_cvt_u32_f32_e32 v4, v4
	v_cvt_u32_f32_e32 v1, v1
	v_readfirstlane_b32 s11, v4
	v_readfirstlane_b32 s12, v1
	s_mul_i32 s13, s2, s11
	s_mul_hi_u32 s15, s2, s12
	s_mul_i32 s14, s10, s12
	s_add_i32 s13, s15, s13
	s_add_i32 s13, s13, s14
	s_mul_i32 s16, s2, s12
	s_mul_hi_u32 s14, s12, s13
	s_mul_i32 s15, s12, s13
	s_mul_hi_u32 s12, s12, s16
	s_add_u32 s12, s12, s15
	s_addc_u32 s14, 0, s14
	s_mul_hi_u32 s17, s11, s16
	s_mul_i32 s16, s11, s16
	s_add_u32 s12, s12, s16
	s_mul_hi_u32 s15, s11, s13
	s_addc_u32 s12, s14, s17
	s_addc_u32 s14, s15, 0
	s_mul_i32 s13, s11, s13
	s_add_u32 s12, s12, s13
	s_addc_u32 s13, 0, s14
	v_add_co_u32_e32 v1, vcc, s12, v1
	s_cmp_lg_u64 vcc, 0
	s_addc_u32 s11, s11, s13
	v_readfirstlane_b32 s13, v1
	s_mul_i32 s12, s2, s11
	s_mul_hi_u32 s14, s2, s13
	s_add_i32 s12, s14, s12
	s_mul_i32 s10, s10, s13
	s_add_i32 s12, s12, s10
	s_mul_i32 s2, s2, s13
	s_mul_hi_u32 s14, s11, s2
	s_mul_i32 s15, s11, s2
	s_mul_i32 s17, s13, s12
	s_mul_hi_u32 s2, s13, s2
	s_mul_hi_u32 s16, s13, s12
	s_add_u32 s2, s2, s17
	s_addc_u32 s13, 0, s16
	s_add_u32 s2, s2, s15
	s_mul_hi_u32 s10, s11, s12
	s_addc_u32 s2, s13, s14
	s_addc_u32 s10, s10, 0
	s_mul_i32 s12, s11, s12
	s_add_u32 s2, s2, s12
	s_addc_u32 s10, 0, s10
	v_add_co_u32_e32 v1, vcc, s2, v1
	s_cmp_lg_u64 vcc, 0
	s_addc_u32 s12, s11, s10
	s_ashr_i32 s10, s3, 31
	s_add_u32 s2, s9, s10
	s_mov_b32 s11, s10
	s_addc_u32 s3, s3, s10
	s_xor_b64 s[2:3], s[2:3], s[10:11]
	v_readfirstlane_b32 s15, v1
	s_mul_i32 s14, s2, s12
	s_mul_hi_u32 s16, s2, s15
	s_mul_hi_u32 s13, s2, s12
	s_add_u32 s14, s16, s14
	s_addc_u32 s13, 0, s13
	s_mul_hi_u32 s17, s3, s15
	s_mul_i32 s15, s3, s15
	s_add_u32 s14, s14, s15
	s_mul_hi_u32 s16, s3, s12
	s_addc_u32 s13, s13, s17
	s_addc_u32 s14, s16, 0
	s_mul_i32 s12, s3, s12
	s_add_u32 s12, s13, s12
	s_addc_u32 s13, 0, s14
	s_add_u32 s14, s12, 1
	s_addc_u32 s15, s13, 0
	s_add_u32 s16, s12, 2
	s_mul_i32 s18, s68, s13
	s_mul_hi_u32 s19, s68, s12
	s_addc_u32 s17, s13, 0
	s_add_i32 s19, s19, s18
	s_mul_i32 s18, s68, s12
	v_mov_b32_e32 v1, s18
	v_sub_co_u32_e32 v1, vcc, s2, v1
	s_cmp_lg_u64 vcc, 0
	s_subb_u32 s2, s3, s19
	v_subrev_co_u32_e32 v4, vcc, s68, v1
	s_cmp_lg_u64 vcc, 0
	s_subb_u32 s3, s2, 0
	v_readfirstlane_b32 s18, v4
	s_cmp_ge_u32 s18, s68
	s_cselect_b32 s18, -1, 0
	s_cmp_eq_u32 s3, 0
	s_cselect_b32 s3, s18, -1
	s_cmp_lg_u32 s3, 0
	s_cselect_b32 s3, s17, s15
	v_readfirstlane_b32 s15, v1
	s_cselect_b32 s14, s16, s14
	s_cmp_ge_u32 s15, s68
	s_cselect_b32 s15, -1, 0
	s_cmp_eq_u32 s2, 0
	s_cselect_b32 s2, s15, -1
	s_cmp_lg_u32 s2, 0
	s_cselect_b32 s3, s3, s13
	s_cselect_b32 s2, s14, s12
	s_xor_b64 s[2:3], s[2:3], s[10:11]
	s_sub_u32 s2, s2, s10
	s_subb_u32 s3, s3, s10
	s_cbranch_execnz .LBB21_5
.LBB21_4:
	v_cvt_f32_u32_e32 v1, s68
	s_sub_i32 s0, 0, s68
	s_mov_b32 s3, 0
	v_rcp_iflag_f32_e32 v1, v1
	v_mul_f32_e32 v1, 0x4f7ffffe, v1
	v_cvt_u32_f32_e32 v1, v1
	v_readfirstlane_b32 s1, v1
	s_mul_i32 s0, s0, s1
	s_mul_hi_u32 s0, s1, s0
	s_add_i32 s1, s1, s0
	s_mul_hi_u32 s0, s9, s1
	s_mul_i32 s2, s0, s68
	s_sub_i32 s2, s9, s2
	s_add_i32 s1, s0, 1
	s_sub_i32 s9, s2, s68
	s_cmp_ge_u32 s2, s68
	s_cselect_b32 s0, s1, s0
	s_cselect_b32 s2, s9, s2
	s_add_i32 s1, s0, 1
	s_cmp_ge_u32 s2, s68
	s_cselect_b32 s2, s1, s0
.LBB21_5:
	v_mov_b32_e32 v14, 0
	v_mov_b32_e32 v1, v14
	;; [unrolled: 1-line block ×3, first 2 shown]
	v_mad_u64_u32 v[16:17], s[0:1], s8, v4, v[0:1]
	s_add_u32 s0, s2, 1
	s_addc_u32 s1, s3, 0
	s_mul_hi_u32 s2, s7, s8
	s_mul_i32 s1, s33, s1
	s_mul_hi_u32 s3, s33, s0
	s_add_i32 s1, s3, s1
	s_mul_i32 s2, s2, s0
	s_add_i32 s1, s1, s2
	s_mul_i32 s0, s33, s0
	s_lshl_b64 s[26:27], s[0:1], 1
	v_cmp_gt_i64_e32 vcc, s[26:27], v[16:17]
	s_and_saveexec_b64 s[0:1], vcc
	s_cbranch_execz .LBB21_50
; %bb.6:
	s_mov_b32 s0, 0x5384540f
	v_mov_b32_e32 v0, v13
	v_add_co_u32_e32 v38, vcc, s0, v12
	s_mov_b32 s0, 0x646e171e
	v_add_co_u32_e32 v39, vcc, s0, v0
	s_mov_b32 s0, 0x1715609d
	;; [unrolled: 2-line block ×6, first 2 shown]
	v_alignbit_b32 v45, v3, v2, 2
	s_mov_b32 s70, 0xd2511f53
	v_add_co_u32_e32 v44, vcc, s0, v12
	v_mad_u64_u32 v[4:5], s[0:1], v45, s70, 0
	v_xor_b32_e32 v1, v5, v13
	v_xor_b32_e32 v1, v1, v17
	s_mov_b32 s71, 0xcd9e8d57
	v_mad_u64_u32 v[6:7], s[0:1], v1, s71, 0
	v_xor_b32_e32 v1, v44, v7
	v_mad_u64_u32 v[8:9], s[0:1], v16, s71, 0
	v_and_b32_e32 v34, 3, v2
	v_xor_b32_e32 v1, v1, v8
	v_xor_b32_e32 v2, v12, v9
	v_lshrrev_b32_e32 v46, 2, v3
	v_mad_u64_u32 v[10:11], s[0:1], v1, s70, 0
	v_xor_b32_e32 v2, v2, v46
	v_xor_b32_e32 v1, v43, v11
	v_mad_u64_u32 v[2:3], s[0:1], v2, s70, 0
	v_xor_b32_e32 v1, v1, v2
	v_mad_u64_u32 v[8:9], s[0:1], v1, s71, 0
	s_mov_b32 s0, 0xbb67ae85
	v_add_co_u32_e32 v47, vcc, s0, v0
	v_xor_b32_e32 v2, v47, v3
	v_xor_b32_e32 v2, v2, v4
	v_xor_b32_e32 v1, v42, v9
	v_mad_u64_u32 v[2:3], s[0:1], v2, s71, 0
	v_xor_b32_e32 v1, v1, v2
	v_mad_u64_u32 v[4:5], s[0:1], v1, s70, 0
	s_mov_b32 s0, 0x3c6ef372
	v_add_co_u32_e32 v48, vcc, s0, v12
	v_xor_b32_e32 v2, v48, v3
	;; [unrolled: 8-line block ×6, first 2 shown]
	v_add_co_u32_e32 v37, vcc, 0xdb3d7428, v0
	v_xor_b32_e32 v2, v2, v6
	v_xor_b32_e32 v1, v37, v5
	v_mad_u64_u32 v[2:3], s[0:1], v2, s70, 0
	v_xor_b32_e32 v1, v1, v2
	v_mad_u64_u32 v[6:7], s[0:1], v1, s71, 0
	s_mov_b32 s0, 0x1fd5c5a3
	v_add_co_u32_e32 v53, vcc, s0, v0
	v_xor_b32_e32 v0, v53, v3
	v_xor_b32_e32 v0, v0, v10
	v_mad_u64_u32 v[0:1], s[0:1], v0, s71, 0
	s_mov_b32 s0, 0xf1bbcdc8
	s_load_dwordx2 s[46:47], s[4:5], 0xf4
	s_load_dwordx4 s[28:31], s[4:5], 0x138
	v_add_co_u32_e32 v54, vcc, s0, v12
	v_xor_b32_e32 v1, v54, v1
	v_xor_b32_e32 v1, v1, v8
	v_mad_u64_u32 v[8:9], s[0:1], v1, s70, 0
	v_add_u32_e32 v36, 0x96a522ad, v13
	v_xor_b32_e32 v1, v9, v4
	s_waitcnt lgkmcnt(0)
	v_add_f64 v[4:5], -s[30:31], 1.0
	v_xor_b32_e32 v0, v7, v0
	v_xor_b32_e32 v2, v36, v1
	v_mov_b32_e32 v1, v6
	v_add_f64 v[6:7], v[4:5], -1.0
	v_mov_b32_e32 v3, v8
	v_add_f64 v[8:9], v[6:7], -v[4:5]
	v_add_f64 v[8:9], v[8:9], 1.0
	v_add_f64 v[6:7], -s[30:31], -v[6:7]
	s_mov_b32 s50, 0x55555555
	v_add_f64 v[6:7], v[6:7], v[8:9]
	v_frexp_mant_f64_e32 v[8:9], v[4:5]
	s_mov_b32 s51, 0x3fe55555
	v_frexp_exp_i32_f64_e32 v10, v[4:5]
	v_cmp_gt_f64_e32 vcc, s[50:51], v[8:9]
	v_subbrev_co_u32_e32 v15, vcc, 0, v10, vcc
	v_sub_u32_e32 v8, 0, v15
	v_ldexp_f64 v[4:5], v[4:5], v8
	v_ldexp_f64 v[6:7], v[6:7], v8
	v_add_f64 v[8:9], v[4:5], -1.0
	v_add_f64 v[20:21], v[4:5], 1.0
	v_add_f64 v[10:11], v[8:9], 1.0
	v_add_f64 v[22:23], v[20:21], -1.0
	v_add_f64 v[10:11], v[4:5], -v[10:11]
	v_add_f64 v[4:5], v[4:5], -v[22:23]
	v_add_f64 v[4:5], v[6:7], v[4:5]
	v_add_f64 v[10:11], v[6:7], v[10:11]
	;; [unrolled: 1-line block ×3, first 2 shown]
	v_rcp_f64_e32 v[22:23], v[6:7]
	v_add_f64 v[18:19], v[8:9], v[10:11]
	v_add_f64 v[8:9], v[18:19], -v[8:9]
	v_add_f64 v[8:9], v[10:11], -v[8:9]
	;; [unrolled: 1-line block ×4, first 2 shown]
	v_fma_f64 v[10:11], -v[6:7], v[22:23], 1.0
	v_fmac_f64_e32 v[22:23], v[10:11], v[22:23]
	v_fma_f64 v[10:11], -v[6:7], v[22:23], 1.0
	v_fmac_f64_e32 v[22:23], v[10:11], v[22:23]
	v_mul_f64 v[10:11], v[18:19], v[22:23]
	v_mul_f64 v[20:21], v[6:7], v[10:11]
	v_fma_f64 v[24:25], v[10:11], v[6:7], -v[20:21]
	v_fmac_f64_e32 v[24:25], v[10:11], v[4:5]
	v_add_f64 v[26:27], v[20:21], v[24:25]
	v_add_f64 v[28:29], v[18:19], -v[26:27]
	v_add_f64 v[18:19], v[18:19], -v[28:29]
	;; [unrolled: 1-line block ×4, first 2 shown]
	v_add_f64 v[8:9], v[8:9], v[18:19]
	v_add_f64 v[18:19], v[20:21], -v[24:25]
	v_add_f64 v[8:9], v[18:19], v[8:9]
	v_add_f64 v[18:19], v[28:29], v[8:9]
	v_add_f64 v[20:21], v[28:29], -v[18:19]
	v_add_f64 v[8:9], v[8:9], v[20:21]
	v_mul_f64 v[20:21], v[22:23], v[18:19]
	v_mul_f64 v[24:25], v[6:7], v[20:21]
	v_fma_f64 v[6:7], v[20:21], v[6:7], -v[24:25]
	v_fmac_f64_e32 v[6:7], v[20:21], v[4:5]
	v_add_f64 v[4:5], v[24:25], v[6:7]
	v_add_f64 v[26:27], v[18:19], -v[4:5]
	v_add_f64 v[18:19], v[18:19], -v[26:27]
	;; [unrolled: 1-line block ×4, first 2 shown]
	v_add_f64 v[4:5], v[8:9], v[4:5]
	v_add_f64 v[6:7], v[24:25], -v[6:7]
	v_add_f64 v[4:5], v[6:7], v[4:5]
	v_add_f64 v[6:7], v[10:11], v[20:21]
	;; [unrolled: 1-line block ×3, first 2 shown]
	v_add_f64 v[8:9], v[6:7], -v[10:11]
	v_mul_f64 v[4:5], v[22:23], v[4:5]
	v_add_f64 v[8:9], v[20:21], -v[8:9]
	v_add_f64 v[4:5], v[8:9], v[4:5]
	v_add_f64 v[8:9], v[6:7], v[4:5]
	v_add_f64 v[6:7], v[8:9], -v[6:7]
	v_mov_b32_e32 v18, 0x6b47b09a
	v_mov_b32_e32 v19, 0x3fc38538
	s_mov_b32 s52, 0xbf559e2b
	v_add_f64 v[4:5], v[4:5], -v[6:7]
	v_mul_f64 v[6:7], v[8:9], v[8:9]
	s_mov_b32 s53, 0x3fc3ab76
	v_pk_mov_b32 v[10:11], v[18:19], v[18:19] op_sel:[0,1]
	v_mov_b32_e32 v20, 0xd7f4df2e
	v_mov_b32_e32 v21, 0x3fc7474d
	v_fmac_f64_e32 v[10:11], s[52:53], v[6:7]
	v_pk_mov_b32 v[24:25], v[20:21], v[20:21] op_sel:[0,1]
	v_mov_b32_e32 v22, 0x16291751
	v_mov_b32_e32 v23, 0x3fcc71c0
	v_fmac_f64_e32 v[24:25], v[6:7], v[10:11]
	v_pk_mov_b32 v[10:11], v[22:23], v[22:23] op_sel:[0,1]
	v_fmac_f64_e32 v[10:11], v[6:7], v[24:25]
	v_mov_b32_e32 v24, 0x9b27acf1
	v_mov_b32_e32 v25, 0x3fd24924
	v_pk_mov_b32 v[28:29], v[24:25], v[24:25] op_sel:[0,1]
	v_mov_b32_e32 v26, 0x998ef7b6
	v_mov_b32_e32 v27, 0x3fd99999
	v_fmac_f64_e32 v[28:29], v[6:7], v[10:11]
	v_pk_mov_b32 v[10:11], v[26:27], v[26:27] op_sel:[0,1]
	v_fmac_f64_e32 v[10:11], v[6:7], v[28:29]
	v_mov_b32_e32 v28, 0x55555780
	v_mov_b32_e32 v29, 0x3fe55555
	v_pk_mov_b32 v[30:31], v[28:29], v[28:29] op_sel:[0,1]
	s_mov_b32 s54, 0xfefa39ef
	v_fmac_f64_e32 v[30:31], v[6:7], v[10:11]
	v_cvt_f64_i32_e32 v[10:11], v15
	s_mov_b32 s55, 0x3fe62e42
	v_mul_f64 v[32:33], v[10:11], s[54:55]
	s_mov_b32 s56, 0x3b39803f
	v_fma_f64 v[56:57], v[10:11], s[54:55], -v[32:33]
	s_mov_b32 s57, 0x3c7abc9e
	v_fmac_f64_e32 v[56:57], s[56:57], v[10:11]
	v_add_f64 v[10:11], v[32:33], v[56:57]
	v_add_f64 v[32:33], v[10:11], -v[32:33]
	v_mul_f64 v[6:7], v[8:9], v[6:7]
	v_add_f64 v[32:33], v[56:57], -v[32:33]
	v_ldexp_f64 v[56:57], v[8:9], 1
	v_mul_f64 v[6:7], v[6:7], v[30:31]
	v_add_f64 v[8:9], v[56:57], v[6:7]
	v_add_f64 v[30:31], v[8:9], -v[56:57]
	v_ldexp_f64 v[4:5], v[4:5], 1
	v_add_f64 v[6:7], v[6:7], -v[30:31]
	v_add_f64 v[4:5], v[4:5], v[6:7]
	v_add_f64 v[6:7], v[8:9], v[4:5]
	s_load_dwordx8 s[8:15], s[4:5], 0x30
	v_add_f64 v[8:9], v[6:7], -v[8:9]
	v_add_f64 v[4:5], v[4:5], -v[8:9]
	v_add_f64 v[8:9], v[10:11], v[6:7]
	v_add_f64 v[30:31], v[8:9], -v[10:11]
	v_add_f64 v[56:57], v[8:9], -v[30:31]
	s_add_u32 s34, s4, 48
	v_add_f64 v[10:11], v[10:11], -v[56:57]
	v_add_f64 v[6:7], v[6:7], -v[30:31]
	s_addc_u32 s35, s5, 0
	s_waitcnt lgkmcnt(0)
	s_add_i32 s0, s8, -1
	v_add_f64 v[6:7], v[6:7], v[10:11]
	v_add_f64 v[10:11], v[32:33], v[4:5]
	s_cmp_gt_u32 s0, 1
	v_add_f64 v[30:31], v[10:11], -v[32:33]
	v_add_f64 v[6:7], v[10:11], v[6:7]
	s_cselect_b64 s[40:41], -1, 0
	s_cmp_lg_u32 s8, 0
	v_add_f64 v[56:57], v[10:11], -v[30:31]
	v_add_f64 v[10:11], v[8:9], v[6:7]
	s_cselect_b64 s[42:43], -1, 0
	s_add_u32 s44, s4, 0xf4
	v_add_f64 v[32:33], v[32:33], -v[56:57]
	v_add_f64 v[4:5], v[4:5], -v[30:31]
	;; [unrolled: 1-line block ×3, first 2 shown]
	s_addc_u32 s45, s5, 0
	s_min_u32 s1, s0, 15
	v_add_f64 v[4:5], v[4:5], v[32:33]
	v_add_f64 v[6:7], v[6:7], -v[8:9]
	s_cmp_gt_u32 s8, 1
	v_add_f64 v[4:5], v[4:5], v[6:7]
	v_mov_b32_e32 v6, 0
	s_cselect_b64 s[48:49], -1, 0
	s_xor_b32 s2, s31, 0x80000000
	v_mov_b32_e32 v7, 0xfff00000
	v_add_f64 v[4:5], v[10:11], v[4:5]
	v_mov_b32_e32 v8, s30
	v_cmp_eq_f64_e32 vcc, s[30:31], v[6:7]
	v_mov_b32_e32 v6, s2
	s_add_i32 s1, s1, 1
	s_mov_b32 s8, s13
	v_cndmask_b32_e32 v4, v4, v8, vcc
	v_cndmask_b32_e32 v5, v5, v6, vcc
	v_mov_b32_e32 v6, 0x7ff80000
	v_cmp_ngt_f64_e64 vcc, s[30:31], 1.0
	s_and_b32 s13, s1, 3
	v_cndmask_b32_e32 v5, v6, v5, vcc
	v_cmp_nge_f64_e64 vcc, s[30:31], 1.0
	s_cmp_lg_u32 s0, 2
	v_cndmask_b32_e32 v30, 0, v4, vcc
	v_cmp_neq_f64_e64 vcc, s[30:31], 1.0
	s_cselect_b64 s[30:31], -1, 0
	s_and_b32 s15, s1, 28
	v_add_u32_e32 v35, 0x8ff34781, v12
	v_mov_b32_e32 v55, 0xfff00000
	s_cmp_lg_u32 s13, 0
	s_mov_b32 s62, 0
	s_mov_b32 s69, 0
	v_xor_b32_e32 v0, v35, v0
	v_cndmask_b32_e32 v31, v55, v5, vcc
	s_mov_b64 s[58:59], 0
	s_cselect_b64 s[60:61], -1, 0
	s_mov_b32 s63, 0x7ff00000
	v_mov_b32_e32 v56, 0x3ff00000
	v_mov_b32_e32 v57, v16
	;; [unrolled: 1-line block ×3, first 2 shown]
	s_branch .LBB21_9
.LBB21_7:                               ;   in Loop: Header=BB21_9 Depth=1
	v_lshrrev_b32_e32 v1, 11, v3
	v_cvt_f64_u32_e32 v[8:9], v1
	v_ldexp_f64 v[8:9], v[8:9], 32
	v_cvt_f64_u32_e32 v[2:3], v2
	v_add_f64 v[2:3], v[8:9], v[2:3]
	v_mov_b32_e32 v8, 0
	v_mov_b32_e32 v9, 0x3ca00000
	v_fmac_f64_e32 v[8:9], 0x3ca00000, v[2:3]
	v_frexp_mant_f64_e32 v[2:3], v[8:9]
	v_cmp_gt_f64_e32 vcc, s[50:51], v[2:3]
	v_cndmask_b32_e64 v15, v56, 2.0, vcc
	v_mul_f64 v[2:3], v[2:3], v[14:15]
	v_add_f64 v[10:11], v[2:3], 1.0
	v_rcp_f64_e32 v[60:61], v[10:11]
	v_add_f64 v[64:65], v[10:11], -1.0
	v_add_f64 v[62:63], v[2:3], -1.0
	v_add_f64 v[2:3], v[2:3], -v[64:65]
	v_fma_f64 v[64:65], -v[10:11], v[60:61], 1.0
	v_fmac_f64_e32 v[60:61], v[64:65], v[60:61]
	v_fma_f64 v[64:65], -v[10:11], v[60:61], 1.0
	v_fmac_f64_e32 v[60:61], v[64:65], v[60:61]
	v_mul_f64 v[64:65], v[62:63], v[60:61]
	v_mul_f64 v[66:67], v[10:11], v[64:65]
	v_fma_f64 v[10:11], v[64:65], v[10:11], -v[66:67]
	v_fmac_f64_e32 v[10:11], v[64:65], v[2:3]
	v_add_f64 v[2:3], v[66:67], v[10:11]
	v_add_f64 v[68:69], v[62:63], -v[2:3]
	v_add_f64 v[66:67], v[2:3], -v[66:67]
	v_add_f64 v[62:63], v[62:63], -v[68:69]
	v_add_f64 v[2:3], v[62:63], -v[2:3]
	v_add_f64 v[10:11], v[66:67], -v[10:11]
	v_add_f64 v[2:3], v[10:11], v[2:3]
	v_add_f64 v[2:3], v[68:69], v[2:3]
	v_mul_f64 v[2:3], v[60:61], v[2:3]
	v_add_f64 v[10:11], v[64:65], v[2:3]
	v_add_f64 v[60:61], v[10:11], -v[64:65]
	v_add_f64 v[2:3], v[2:3], -v[60:61]
	v_mul_f64 v[60:61], v[10:11], v[10:11]
	v_pk_mov_b32 v[62:63], v[18:19], v[18:19] op_sel:[0,1]
	v_fmac_f64_e32 v[62:63], s[52:53], v[60:61]
	v_pk_mov_b32 v[64:65], v[20:21], v[20:21] op_sel:[0,1]
	v_fmac_f64_e32 v[64:65], v[60:61], v[62:63]
	;; [unrolled: 2-line block ×6, first 2 shown]
	v_ldexp_f64 v[62:63], v[10:11], 1
	v_mul_f64 v[10:11], v[10:11], v[60:61]
	v_mul_f64 v[10:11], v[10:11], v[64:65]
	v_add_f64 v[60:61], v[62:63], v[10:11]
	v_add_f64 v[62:63], v[60:61], -v[62:63]
	v_ldexp_f64 v[2:3], v[2:3], 1
	v_add_f64 v[10:11], v[10:11], -v[62:63]
	v_add_f64 v[2:3], v[2:3], v[10:11]
	v_frexp_exp_i32_f64_e32 v1, v[8:9]
	v_add_f64 v[10:11], v[60:61], v[2:3]
	v_subbrev_co_u32_e32 v1, vcc, 0, v1, vcc
	v_add_f64 v[60:61], v[10:11], -v[60:61]
	v_add_f64 v[2:3], v[2:3], -v[60:61]
	v_cvt_f64_i32_e32 v[60:61], v1
	v_mul_f64 v[62:63], v[60:61], s[54:55]
	v_fma_f64 v[64:65], v[60:61], s[54:55], -v[62:63]
	v_fmac_f64_e32 v[64:65], s[56:57], v[60:61]
	v_add_f64 v[60:61], v[62:63], v[64:65]
	v_add_f64 v[62:63], v[60:61], -v[62:63]
	v_add_f64 v[62:63], v[64:65], -v[62:63]
	v_add_f64 v[64:65], v[60:61], v[10:11]
	v_add_f64 v[66:67], v[64:65], -v[60:61]
	v_add_f64 v[68:69], v[64:65], -v[66:67]
	v_add_f64 v[60:61], v[60:61], -v[68:69]
	v_add_f64 v[10:11], v[10:11], -v[66:67]
	v_add_f64 v[10:11], v[10:11], v[60:61]
	v_add_f64 v[60:61], v[62:63], v[2:3]
	v_add_f64 v[66:67], v[60:61], -v[62:63]
	v_add_f64 v[68:69], v[60:61], -v[66:67]
	v_add_f64 v[10:11], v[60:61], v[10:11]
	v_add_f64 v[62:63], v[62:63], -v[68:69]
	v_add_f64 v[2:3], v[2:3], -v[66:67]
	v_add_f64 v[60:61], v[64:65], v[10:11]
	v_add_f64 v[2:3], v[2:3], v[62:63]
	v_add_f64 v[62:63], v[60:61], -v[64:65]
	v_add_f64 v[10:11], v[10:11], -v[62:63]
	v_add_f64 v[2:3], v[2:3], v[10:11]
	v_add_f64 v[2:3], v[60:61], v[2:3]
	v_cmp_eq_f64_e32 vcc, s[62:63], v[8:9]
	v_cndmask_b32_e32 v1, v2, v8, vcc
	v_cndmask_b32_e32 v2, v3, v9, vcc
	v_cmp_neq_f64_e32 vcc, 0, v[8:9]
	v_cndmask_b32_e32 v3, v55, v2, vcc
	v_cndmask_b32_e32 v2, 0, v1, vcc
	v_div_scale_f64 v[8:9], s[0:1], v[30:31], v[30:31], v[2:3]
	v_rcp_f64_e32 v[10:11], v[8:9]
	v_fma_f64 v[60:61], -v[8:9], v[10:11], 1.0
	v_fmac_f64_e32 v[10:11], v[10:11], v[60:61]
	v_fma_f64 v[60:61], -v[8:9], v[10:11], 1.0
	v_fmac_f64_e32 v[10:11], v[10:11], v[60:61]
	v_div_scale_f64 v[60:61], vcc, v[2:3], v[30:31], v[2:3]
	v_mul_f64 v[62:63], v[60:61], v[10:11]
	v_fma_f64 v[8:9], -v[8:9], v[62:63], v[60:61]
	s_nop 1
	v_div_fmas_f64 v[8:9], v[8:9], v[10:11], v[62:63]
	v_div_fixup_f64 v[2:3], v[8:9], v[30:31], v[2:3]
	v_ceil_f64_e32 v[2:3], v[2:3]
	global_store_dwordx2 v0, v[2:3], s[28:29]
.LBB21_8:                               ;   in Loop: Header=BB21_9 Depth=1
	s_or_b64 exec, exec, s[36:37]
	v_add_co_u32_e32 v16, vcc, s68, v16
	v_addc_co_u32_e32 v17, vcc, 0, v17, vcc
	v_mov_b32_e32 v7, v32
	v_cmp_le_i64_e32 vcc, s[26:27], v[16:17]
	v_pk_mov_b32 v[0:1], v[4:5], v[4:5] op_sel:[0,1]
	s_or_b64 s[58:59], vcc, s[58:59]
	v_pk_mov_b32 v[2:3], v[6:7], v[6:7] op_sel:[0,1]
	s_barrier
	s_andn2_b64 exec, exec, s[58:59]
	s_cbranch_execz .LBB21_50
.LBB21_9:                               ; =>This Loop Header: Depth=1
                                        ;     Child Loop BB21_24 Depth 2
                                        ;     Child Loop BB21_30 Depth 2
	;; [unrolled: 1-line block ×4, first 2 shown]
	v_add_co_u32_e32 v45, vcc, 1, v45
	v_cndmask_b32_e64 v4, 0, 1, vcc
	v_addc_co_u32_e32 v46, vcc, 0, v46, vcc
	v_cmp_eq_u32_e32 vcc, 0, v46
	v_cndmask_b32_e32 v4, 0, v4, vcc
	v_add_u32_e32 v57, v4, v57
	v_cmp_eq_u32_e32 vcc, 0, v57
	v_cndmask_b32_e32 v4, 0, v4, vcc
	v_add_u32_e32 v58, v4, v58
	v_mad_u64_u32 v[4:5], s[0:1], v45, s70, 0
	v_mad_u64_u32 v[6:7], s[0:1], v57, s71, 0
	v_xor_b32_e32 v5, v5, v13
	v_xor_b32_e32 v7, v7, v12
	v_xor_b32_e32 v5, v58, v5
	v_xor_b32_e32 v7, v46, v7
	v_mad_u64_u32 v[10:11], s[0:1], v5, s71, 0
	v_mad_u64_u32 v[8:9], s[0:1], v7, s70, 0
	v_xor_b32_e32 v5, v44, v11
	v_xor_b32_e32 v5, v5, v6
	v_xor_b32_e32 v6, v47, v9
	v_xor_b32_e32 v6, v6, v4
	;; [unrolled: 6-line block ×10, first 2 shown]
	v_mov_b32_e32 v5, v10
	v_mov_b32_e32 v6, v11
	v_cmp_lt_i32_e32 vcc, 1, v34
	s_and_saveexec_b64 s[0:1], vcc
	s_xor_b64 s[0:1], exec, s[0:1]
	s_cbranch_execz .LBB21_15
; %bb.10:                               ;   in Loop: Header=BB21_9 Depth=1
	v_cmp_lt_i32_e32 vcc, 2, v34
	s_and_saveexec_b64 s[2:3], vcc
	s_xor_b64 s[2:3], exec, s[2:3]
; %bb.11:                               ;   in Loop: Header=BB21_9 Depth=1
	v_mov_b32_e32 v8, v3
	v_mov_b32_e32 v9, v4
	v_pk_mov_b32 v[0:1], v[8:9], v[8:9] op_sel:[0,1]
	v_pk_mov_b32 v[2:3], v[10:11], v[10:11] op_sel:[0,1]
                                        ; implicit-def: $vgpr10_vgpr11
; %bb.12:                               ;   in Loop: Header=BB21_9 Depth=1
	s_andn2_saveexec_b64 s[2:3], s[2:3]
; %bb.13:                               ;   in Loop: Header=BB21_9 Depth=1
	v_mov_b32_e32 v0, v2
	v_mov_b32_e32 v1, v3
	;; [unrolled: 1-line block ×4, first 2 shown]
; %bb.14:                               ;   in Loop: Header=BB21_9 Depth=1
	s_or_b64 exec, exec, s[2:3]
.LBB21_15:                              ;   in Loop: Header=BB21_9 Depth=1
	s_andn2_saveexec_b64 s[0:1], s[0:1]
	s_cbranch_execz .LBB21_19
; %bb.16:                               ;   in Loop: Header=BB21_9 Depth=1
	v_cmp_eq_u32_e32 vcc, 1, v34
	s_and_saveexec_b64 s[2:3], vcc
; %bb.17:                               ;   in Loop: Header=BB21_9 Depth=1
	v_mov_b32_e32 v0, v1
	v_mov_b32_e32 v1, v2
	;; [unrolled: 1-line block ×4, first 2 shown]
; %bb.18:                               ;   in Loop: Header=BB21_9 Depth=1
	s_or_b64 exec, exec, s[2:3]
.LBB21_19:                              ;   in Loop: Header=BB21_9 Depth=1
	s_or_b64 exec, exec, s[0:1]
	v_cndmask_b32_e64 v7, 0, 1, s[40:41]
	v_cmp_gt_i64_e32 vcc, s[24:25], v[16:17]
	v_cmp_ne_u32_e64 s[0:1], 1, v7
	s_and_saveexec_b64 s[2:3], vcc
	s_cbranch_execz .LBB21_35
; %bb.20:                               ;   in Loop: Header=BB21_9 Depth=1
	s_and_b64 vcc, exec, s[0:1]
	s_cbranch_vccnz .LBB21_26
; %bb.21:                               ;   in Loop: Header=BB21_9 Depth=1
	s_andn2_b64 vcc, exec, s[42:43]
	s_cbranch_vccnz .LBB21_27
; %bb.22:                               ;   in Loop: Header=BB21_9 Depth=1
	s_mov_b32 s6, 0
	s_andn2_b64 vcc, exec, s[30:31]
	v_mov_b32_e32 v8, 0
	s_cbranch_vccnz .LBB21_28
; %bb.23:                               ;   in Loop: Header=BB21_9 Depth=1
	s_mov_b32 s72, 0
	v_mov_b32_e32 v8, 0
	s_mov_b64 s[64:65], s[34:35]
	s_mov_b64 s[66:67], s[44:45]
	v_mov_b32_e32 v7, v16
.LBB21_24:                              ;   Parent Loop BB21_9 Depth=1
                                        ; =>  This Inner Loop Header: Depth=2
	s_load_dwordx8 s[16:23], s[64:65], 0x4
	s_load_dwordx4 s[4:7], s[64:65], 0x24
	s_load_dwordx4 s[36:39], s[66:67], 0x0
	s_add_u32 s64, s64, 48
	s_addc_u32 s65, s65, 0
	s_waitcnt lgkmcnt(0)
	v_mul_hi_u32 v9, s17, v7
	v_add_u32_e32 v9, v7, v9
	v_lshrrev_b32_e32 v9, s18, v9
	v_mul_lo_u32 v10, v9, s16
	v_mul_hi_u32 v11, s20, v9
	v_sub_u32_e32 v7, v7, v10
	v_add_u32_e32 v10, v9, v11
	v_lshrrev_b32_e32 v10, s21, v10
	v_mul_lo_u32 v11, v10, s19
	v_mul_hi_u32 v15, s23, v10
	v_sub_u32_e32 v9, v9, v11
	v_add_u32_e32 v11, v10, v15
	v_mul_lo_u32 v7, v7, s36
	v_mul_lo_u32 v9, v9, s37
	v_lshrrev_b32_e32 v11, s4, v11
	v_add3_u32 v8, v7, v8, v9
	v_mul_lo_u32 v7, v11, s22
	v_mul_hi_u32 v9, s6, v11
	v_sub_u32_e32 v7, v10, v7
	v_add_u32_e32 v9, v11, v9
	v_mul_lo_u32 v10, v7, s38
	v_lshrrev_b32_e32 v7, s7, v9
	s_add_i32 s72, s72, 4
	v_mul_lo_u32 v9, v7, s5
	s_add_u32 s66, s66, 16
	v_sub_u32_e32 v9, v11, v9
	s_addc_u32 s67, s67, 0
	v_mul_lo_u32 v9, v9, s39
	s_cmp_lg_u32 s15, s72
	v_add3_u32 v8, v10, v8, v9
	s_cbranch_scc1 .LBB21_24
; %bb.25:                               ;   in Loop: Header=BB21_9 Depth=1
	s_mov_b32 s6, s15
	s_andn2_b64 vcc, exec, s[60:61]
	s_cbranch_vccz .LBB21_29
	s_branch .LBB21_31
.LBB21_26:                              ;   in Loop: Header=BB21_9 Depth=1
                                        ; implicit-def: $vgpr8
	s_branch .LBB21_32
.LBB21_27:                              ;   in Loop: Header=BB21_9 Depth=1
	v_mov_b32_e32 v8, 0
	s_branch .LBB21_31
.LBB21_28:                              ;   in Loop: Header=BB21_9 Depth=1
	v_mov_b32_e32 v7, v16
	s_andn2_b64 vcc, exec, s[60:61]
	s_cbranch_vccnz .LBB21_31
.LBB21_29:                              ;   in Loop: Header=BB21_9 Depth=1
	s_lshl_b32 s4, s6, 2
	s_add_u32 s4, s44, s4
	s_addc_u32 s5, s45, 0
	s_mul_i32 s6, s6, 12
	s_add_u32 s6, s34, s6
	s_addc_u32 s7, s35, 0
	s_mov_b32 s16, s13
.LBB21_30:                              ;   Parent Loop BB21_9 Depth=1
                                        ; =>  This Inner Loop Header: Depth=2
	s_load_dwordx2 s[18:19], s[6:7], 0x4
	s_load_dword s17, s[6:7], 0xc
	s_load_dword s20, s[4:5], 0x0
	s_add_u32 s6, s6, 12
	s_addc_u32 s7, s7, 0
	s_waitcnt lgkmcnt(0)
	v_mul_hi_u32 v9, s19, v7
	v_add_u32_e32 v9, v7, v9
	v_lshrrev_b32_e32 v9, s17, v9
	s_add_u32 s4, s4, 4
	v_mul_lo_u32 v10, v9, s18
	s_addc_u32 s5, s5, 0
	s_add_i32 s16, s16, -1
	v_sub_u32_e32 v10, v7, v10
	s_cmp_lg_u32 s16, 0
	v_mov_b32_e32 v7, v9
	v_mad_u64_u32 v[8:9], s[18:19], v10, s20, v[8:9]
	s_cbranch_scc1 .LBB21_30
.LBB21_31:                              ;   in Loop: Header=BB21_9 Depth=1
	s_cbranch_execnz .LBB21_34
.LBB21_32:                              ;   in Loop: Header=BB21_9 Depth=1
	v_mul_hi_u32 v7, v16, s10
	v_add_u32_e32 v7, v7, v16
	v_lshrrev_b32_e32 v7, s11, v7
	v_mul_lo_u32 v8, v7, s9
	v_sub_u32_e32 v8, v16, v8
	s_andn2_b64 vcc, exec, s[48:49]
	v_mul_lo_u32 v8, v8, s46
	s_cbranch_vccnz .LBB21_34
; %bb.33:                               ;   in Loop: Header=BB21_9 Depth=1
	v_mul_hi_u32 v9, s8, v7
	v_add_u32_e32 v9, v7, v9
	v_lshrrev_b32_e32 v9, s14, v9
	v_mul_lo_u32 v9, v9, s12
	v_sub_u32_e32 v7, v7, v9
	v_mad_u64_u32 v[8:9], s[4:5], v7, s47, v[8:9]
.LBB21_34:                              ;   in Loop: Header=BB21_9 Depth=1
	v_lshrrev_b32_e32 v1, 11, v1
	v_cvt_f64_u32_e32 v[10:11], v1
	v_ldexp_f64 v[10:11], v[10:11], 32
	v_cvt_f64_u32_e32 v[0:1], v0
	v_add_f64 v[0:1], v[10:11], v[0:1]
	v_mov_b32_e32 v10, 0
	v_mov_b32_e32 v11, 0x3ca00000
	v_fmac_f64_e32 v[10:11], 0x3ca00000, v[0:1]
	v_frexp_mant_f64_e32 v[0:1], v[10:11]
	v_cmp_gt_f64_e32 vcc, s[50:51], v[0:1]
	v_cndmask_b32_e64 v15, v56, 2.0, vcc
	v_mul_f64 v[0:1], v[0:1], v[14:15]
	v_add_f64 v[60:61], v[0:1], 1.0
	v_rcp_f64_e32 v[62:63], v[60:61]
	v_add_f64 v[66:67], v[60:61], -1.0
	v_add_f64 v[64:65], v[0:1], -1.0
	v_add_f64 v[0:1], v[0:1], -v[66:67]
	v_fma_f64 v[66:67], -v[60:61], v[62:63], 1.0
	v_fmac_f64_e32 v[62:63], v[66:67], v[62:63]
	v_fma_f64 v[66:67], -v[60:61], v[62:63], 1.0
	v_fmac_f64_e32 v[62:63], v[66:67], v[62:63]
	v_mul_f64 v[66:67], v[64:65], v[62:63]
	v_mul_f64 v[68:69], v[60:61], v[66:67]
	v_fma_f64 v[60:61], v[66:67], v[60:61], -v[68:69]
	v_fmac_f64_e32 v[60:61], v[66:67], v[0:1]
	v_add_f64 v[0:1], v[68:69], v[60:61]
	v_add_f64 v[70:71], v[64:65], -v[0:1]
	v_add_f64 v[68:69], v[0:1], -v[68:69]
	v_add_f64 v[64:65], v[64:65], -v[70:71]
	v_add_f64 v[0:1], v[64:65], -v[0:1]
	v_add_f64 v[60:61], v[68:69], -v[60:61]
	v_add_f64 v[0:1], v[60:61], v[0:1]
	v_add_f64 v[0:1], v[70:71], v[0:1]
	v_mul_f64 v[0:1], v[62:63], v[0:1]
	v_add_f64 v[60:61], v[66:67], v[0:1]
	v_add_f64 v[62:63], v[60:61], -v[66:67]
	v_add_f64 v[0:1], v[0:1], -v[62:63]
	v_mul_f64 v[62:63], v[60:61], v[60:61]
	v_pk_mov_b32 v[64:65], v[18:19], v[18:19] op_sel:[0,1]
	v_fmac_f64_e32 v[64:65], s[52:53], v[62:63]
	v_pk_mov_b32 v[66:67], v[20:21], v[20:21] op_sel:[0,1]
	v_fmac_f64_e32 v[66:67], v[62:63], v[64:65]
	;; [unrolled: 2-line block ×6, first 2 shown]
	v_ldexp_f64 v[64:65], v[60:61], 1
	v_mul_f64 v[60:61], v[60:61], v[62:63]
	v_mul_f64 v[60:61], v[60:61], v[66:67]
	v_add_f64 v[62:63], v[64:65], v[60:61]
	v_add_f64 v[64:65], v[62:63], -v[64:65]
	v_ldexp_f64 v[0:1], v[0:1], 1
	v_add_f64 v[60:61], v[60:61], -v[64:65]
	v_add_f64 v[0:1], v[0:1], v[60:61]
	v_frexp_exp_i32_f64_e32 v7, v[10:11]
	v_add_f64 v[60:61], v[62:63], v[0:1]
	v_subbrev_co_u32_e32 v7, vcc, 0, v7, vcc
	v_add_f64 v[62:63], v[60:61], -v[62:63]
	v_add_f64 v[0:1], v[0:1], -v[62:63]
	v_cvt_f64_i32_e32 v[62:63], v7
	v_mul_f64 v[64:65], v[62:63], s[54:55]
	v_fma_f64 v[66:67], v[62:63], s[54:55], -v[64:65]
	v_fmac_f64_e32 v[66:67], s[56:57], v[62:63]
	v_add_f64 v[62:63], v[64:65], v[66:67]
	v_add_f64 v[64:65], v[62:63], -v[64:65]
	v_add_f64 v[64:65], v[66:67], -v[64:65]
	v_add_f64 v[66:67], v[62:63], v[60:61]
	v_add_f64 v[68:69], v[66:67], -v[62:63]
	v_add_f64 v[70:71], v[66:67], -v[68:69]
	;; [unrolled: 1-line block ×4, first 2 shown]
	v_add_f64 v[60:61], v[60:61], v[62:63]
	v_add_f64 v[62:63], v[64:65], v[0:1]
	v_add_f64 v[68:69], v[62:63], -v[64:65]
	v_add_f64 v[70:71], v[62:63], -v[68:69]
	v_add_f64 v[60:61], v[62:63], v[60:61]
	v_add_f64 v[64:65], v[64:65], -v[70:71]
	v_add_f64 v[0:1], v[0:1], -v[68:69]
	v_add_f64 v[62:63], v[66:67], v[60:61]
	v_add_f64 v[0:1], v[0:1], v[64:65]
	v_add_f64 v[64:65], v[62:63], -v[66:67]
	v_add_f64 v[60:61], v[60:61], -v[64:65]
	v_add_f64 v[0:1], v[0:1], v[60:61]
	v_add_f64 v[0:1], v[62:63], v[0:1]
	v_cmp_eq_f64_e32 vcc, s[62:63], v[10:11]
	v_cndmask_b32_e32 v0, v0, v10, vcc
	v_cndmask_b32_e32 v1, v1, v11, vcc
	v_cmp_neq_f64_e32 vcc, 0, v[10:11]
	v_cndmask_b32_e32 v1, v55, v1, vcc
	v_cndmask_b32_e32 v0, 0, v0, vcc
	v_div_scale_f64 v[10:11], s[4:5], v[30:31], v[30:31], v[0:1]
	v_rcp_f64_e32 v[60:61], v[10:11]
	v_fma_f64 v[62:63], -v[10:11], v[60:61], 1.0
	v_fmac_f64_e32 v[60:61], v[60:61], v[62:63]
	v_fma_f64 v[62:63], -v[10:11], v[60:61], 1.0
	v_fmac_f64_e32 v[60:61], v[60:61], v[62:63]
	v_div_scale_f64 v[62:63], vcc, v[0:1], v[30:31], v[0:1]
	v_mul_f64 v[64:65], v[62:63], v[60:61]
	v_fma_f64 v[10:11], -v[10:11], v[64:65], v[62:63]
	s_nop 1
	v_div_fmas_f64 v[10:11], v[10:11], v[60:61], v[64:65]
	v_div_fixup_f64 v[0:1], v[10:11], v[30:31], v[0:1]
	v_ceil_f64_e32 v[0:1], v[0:1]
	global_store_dwordx2 v8, v[0:1], s[28:29]
.LBB21_35:                              ;   in Loop: Header=BB21_9 Depth=1
	s_or_b64 exec, exec, s[2:3]
	v_mov_b32_e32 v0, s69
	v_add_co_u32_e32 v8, vcc, s33, v16
	v_addc_co_u32_e32 v9, vcc, v17, v0, vcc
	v_cmp_gt_i64_e32 vcc, s[24:25], v[8:9]
	s_and_saveexec_b64 s[36:37], vcc
	s_cbranch_execz .LBB21_8
; %bb.36:                               ;   in Loop: Header=BB21_9 Depth=1
	s_and_b64 vcc, exec, s[0:1]
	s_cbranch_vccnz .LBB21_42
; %bb.37:                               ;   in Loop: Header=BB21_9 Depth=1
	s_andn2_b64 vcc, exec, s[42:43]
	s_cbranch_vccnz .LBB21_43
; %bb.38:                               ;   in Loop: Header=BB21_9 Depth=1
	s_mov_b32 s2, 0
	s_andn2_b64 vcc, exec, s[30:31]
	v_mov_b32_e32 v0, 0
	s_cbranch_vccnz .LBB21_44
; %bb.39:                               ;   in Loop: Header=BB21_9 Depth=1
	s_mov_b32 s66, 0
	v_mov_b32_e32 v0, 0
	s_mov_b64 s[38:39], s[34:35]
	s_mov_b64 s[64:65], s[44:45]
	v_mov_b32_e32 v7, v8
.LBB21_40:                              ;   Parent Loop BB21_9 Depth=1
                                        ; =>  This Inner Loop Header: Depth=2
	s_load_dwordx8 s[0:7], s[38:39], 0x4
	s_load_dwordx4 s[16:19], s[38:39], 0x24
	s_load_dwordx4 s[20:23], s[64:65], 0x0
	s_add_u32 s38, s38, 48
	s_addc_u32 s39, s39, 0
	s_waitcnt lgkmcnt(0)
	v_mul_hi_u32 v1, s1, v7
	v_add_u32_e32 v1, v7, v1
	v_lshrrev_b32_e32 v1, s2, v1
	v_mul_lo_u32 v9, v1, s0
	v_mul_hi_u32 v10, s4, v1
	v_sub_u32_e32 v7, v7, v9
	v_add_u32_e32 v9, v1, v10
	v_lshrrev_b32_e32 v9, s5, v9
	v_mul_lo_u32 v10, v9, s3
	v_mul_hi_u32 v11, s7, v9
	v_sub_u32_e32 v1, v1, v10
	v_add_u32_e32 v10, v9, v11
	v_mul_lo_u32 v7, v7, s20
	v_mul_lo_u32 v1, v1, s21
	v_lshrrev_b32_e32 v10, s16, v10
	v_add3_u32 v0, v7, v0, v1
	v_mul_hi_u32 v7, s18, v10
	v_add_u32_e32 v7, v10, v7
	v_mul_lo_u32 v1, v10, s6
	v_lshrrev_b32_e32 v7, s19, v7
	s_add_i32 s66, s66, 4
	v_sub_u32_e32 v1, v9, v1
	v_mul_lo_u32 v9, v7, s17
	s_add_u32 s64, s64, 16
	v_sub_u32_e32 v9, v10, v9
	s_addc_u32 s65, s65, 0
	v_mul_lo_u32 v1, v1, s22
	v_mul_lo_u32 v9, v9, s23
	s_cmp_eq_u32 s15, s66
	v_add3_u32 v0, v1, v0, v9
	s_cbranch_scc0 .LBB21_40
; %bb.41:                               ;   in Loop: Header=BB21_9 Depth=1
	s_mov_b32 s2, s15
	s_andn2_b64 vcc, exec, s[60:61]
	s_cbranch_vccz .LBB21_45
	s_branch .LBB21_47
.LBB21_42:                              ;   in Loop: Header=BB21_9 Depth=1
                                        ; implicit-def: $vgpr0
	s_branch .LBB21_48
.LBB21_43:                              ;   in Loop: Header=BB21_9 Depth=1
	v_mov_b32_e32 v0, 0
	s_branch .LBB21_47
.LBB21_44:                              ;   in Loop: Header=BB21_9 Depth=1
	v_mov_b32_e32 v7, v8
	s_andn2_b64 vcc, exec, s[60:61]
	s_cbranch_vccnz .LBB21_47
.LBB21_45:                              ;   in Loop: Header=BB21_9 Depth=1
	s_lshl_b32 s0, s2, 2
	s_add_u32 s0, s44, s0
	s_addc_u32 s1, s45, 0
	s_mul_i32 s2, s2, 12
	s_add_u32 s2, s34, s2
	s_addc_u32 s3, s35, 0
	s_mov_b32 s4, s13
.LBB21_46:                              ;   Parent Loop BB21_9 Depth=1
                                        ; =>  This Inner Loop Header: Depth=2
	s_load_dwordx2 s[6:7], s[2:3], 0x4
	s_load_dword s5, s[2:3], 0xc
	s_load_dword s16, s[0:1], 0x0
	s_add_u32 s2, s2, 12
	s_addc_u32 s3, s3, 0
	s_waitcnt lgkmcnt(0)
	v_mul_hi_u32 v1, s7, v7
	v_add_u32_e32 v1, v7, v1
	v_lshrrev_b32_e32 v1, s5, v1
	s_add_u32 s0, s0, 4
	v_mul_lo_u32 v9, v1, s6
	s_addc_u32 s1, s1, 0
	s_add_i32 s4, s4, -1
	v_sub_u32_e32 v9, v7, v9
	s_cmp_lg_u32 s4, 0
	v_mov_b32_e32 v7, v1
	v_mad_u64_u32 v[0:1], s[6:7], v9, s16, v[0:1]
	s_cbranch_scc1 .LBB21_46
.LBB21_47:                              ;   in Loop: Header=BB21_9 Depth=1
	s_cbranch_execnz .LBB21_7
.LBB21_48:                              ;   in Loop: Header=BB21_9 Depth=1
	v_mul_hi_u32 v0, v8, s10
	v_add_u32_e32 v0, v0, v8
	v_lshrrev_b32_e32 v1, s11, v0
	v_mul_lo_u32 v0, v1, s9
	v_sub_u32_e32 v0, v8, v0
	s_andn2_b64 vcc, exec, s[48:49]
	v_mul_lo_u32 v0, v0, s46
	s_cbranch_vccnz .LBB21_7
; %bb.49:                               ;   in Loop: Header=BB21_9 Depth=1
	v_mul_hi_u32 v7, s8, v1
	v_add_u32_e32 v7, v1, v7
	v_lshrrev_b32_e32 v7, s14, v7
	v_mul_lo_u32 v7, v7, s12
	v_sub_u32_e32 v1, v1, v7
	v_mad_u64_u32 v[0:1], s[0:1], v1, s47, v[0:1]
	s_branch .LBB21_7
.LBB21_50:
	s_endpgm
.LBB21_51:
                                        ; implicit-def: $sgpr2_sgpr3
	s_andn2_b64 vcc, exec, s[0:1]
	s_cbranch_vccz .LBB21_4
	s_branch .LBB21_5
	.section	.rodata,"a",@progbits
	.p2align	6, 0x0
	.amdhsa_kernel _ZN2at6native12_GLOBAL__N_143distribution_elementwise_grid_stride_kernelIdLi2EZNS0_9templates4cuda21uniform_and_transformIddPNS_17CUDAGeneratorImplEZZZNS4_16geometric_kernelIS7_EEvRNS_18TensorIteratorBaseEdT_ENKUlvE_clEvENKUlvE4_clEvEUldE_EEvSA_T1_T2_EUlP25hiprandStatePhilox4_32_10E_ZNS1_27distribution_nullary_kernelIdd15HIP_vector_typeIdLj2EES7_SJ_SE_EEvSA_SG_RKT3_T4_EUlidE0_EEvlNS_15PhiloxCudaStateESF_SG_
		.amdhsa_group_segment_fixed_size 0
		.amdhsa_private_segment_fixed_size 0
		.amdhsa_kernarg_size 584
		.amdhsa_user_sgpr_count 6
		.amdhsa_user_sgpr_private_segment_buffer 1
		.amdhsa_user_sgpr_dispatch_ptr 0
		.amdhsa_user_sgpr_queue_ptr 0
		.amdhsa_user_sgpr_kernarg_segment_ptr 1
		.amdhsa_user_sgpr_dispatch_id 0
		.amdhsa_user_sgpr_flat_scratch_init 0
		.amdhsa_user_sgpr_kernarg_preload_length 0
		.amdhsa_user_sgpr_kernarg_preload_offset 0
		.amdhsa_user_sgpr_private_segment_size 0
		.amdhsa_uses_dynamic_stack 0
		.amdhsa_system_sgpr_private_segment_wavefront_offset 0
		.amdhsa_system_sgpr_workgroup_id_x 1
		.amdhsa_system_sgpr_workgroup_id_y 0
		.amdhsa_system_sgpr_workgroup_id_z 0
		.amdhsa_system_sgpr_workgroup_info 0
		.amdhsa_system_vgpr_workitem_id 0
		.amdhsa_next_free_vgpr 72
		.amdhsa_next_free_sgpr 73
		.amdhsa_accum_offset 72
		.amdhsa_reserve_vcc 1
		.amdhsa_reserve_flat_scratch 0
		.amdhsa_float_round_mode_32 0
		.amdhsa_float_round_mode_16_64 0
		.amdhsa_float_denorm_mode_32 3
		.amdhsa_float_denorm_mode_16_64 3
		.amdhsa_dx10_clamp 1
		.amdhsa_ieee_mode 1
		.amdhsa_fp16_overflow 0
		.amdhsa_tg_split 0
		.amdhsa_exception_fp_ieee_invalid_op 0
		.amdhsa_exception_fp_denorm_src 0
		.amdhsa_exception_fp_ieee_div_zero 0
		.amdhsa_exception_fp_ieee_overflow 0
		.amdhsa_exception_fp_ieee_underflow 0
		.amdhsa_exception_fp_ieee_inexact 0
		.amdhsa_exception_int_div_zero 0
	.end_amdhsa_kernel
	.section	.text._ZN2at6native12_GLOBAL__N_143distribution_elementwise_grid_stride_kernelIdLi2EZNS0_9templates4cuda21uniform_and_transformIddPNS_17CUDAGeneratorImplEZZZNS4_16geometric_kernelIS7_EEvRNS_18TensorIteratorBaseEdT_ENKUlvE_clEvENKUlvE4_clEvEUldE_EEvSA_T1_T2_EUlP25hiprandStatePhilox4_32_10E_ZNS1_27distribution_nullary_kernelIdd15HIP_vector_typeIdLj2EES7_SJ_SE_EEvSA_SG_RKT3_T4_EUlidE0_EEvlNS_15PhiloxCudaStateESF_SG_,"axG",@progbits,_ZN2at6native12_GLOBAL__N_143distribution_elementwise_grid_stride_kernelIdLi2EZNS0_9templates4cuda21uniform_and_transformIddPNS_17CUDAGeneratorImplEZZZNS4_16geometric_kernelIS7_EEvRNS_18TensorIteratorBaseEdT_ENKUlvE_clEvENKUlvE4_clEvEUldE_EEvSA_T1_T2_EUlP25hiprandStatePhilox4_32_10E_ZNS1_27distribution_nullary_kernelIdd15HIP_vector_typeIdLj2EES7_SJ_SE_EEvSA_SG_RKT3_T4_EUlidE0_EEvlNS_15PhiloxCudaStateESF_SG_,comdat
.Lfunc_end21:
	.size	_ZN2at6native12_GLOBAL__N_143distribution_elementwise_grid_stride_kernelIdLi2EZNS0_9templates4cuda21uniform_and_transformIddPNS_17CUDAGeneratorImplEZZZNS4_16geometric_kernelIS7_EEvRNS_18TensorIteratorBaseEdT_ENKUlvE_clEvENKUlvE4_clEvEUldE_EEvSA_T1_T2_EUlP25hiprandStatePhilox4_32_10E_ZNS1_27distribution_nullary_kernelIdd15HIP_vector_typeIdLj2EES7_SJ_SE_EEvSA_SG_RKT3_T4_EUlidE0_EEvlNS_15PhiloxCudaStateESF_SG_, .Lfunc_end21-_ZN2at6native12_GLOBAL__N_143distribution_elementwise_grid_stride_kernelIdLi2EZNS0_9templates4cuda21uniform_and_transformIddPNS_17CUDAGeneratorImplEZZZNS4_16geometric_kernelIS7_EEvRNS_18TensorIteratorBaseEdT_ENKUlvE_clEvENKUlvE4_clEvEUldE_EEvSA_T1_T2_EUlP25hiprandStatePhilox4_32_10E_ZNS1_27distribution_nullary_kernelIdd15HIP_vector_typeIdLj2EES7_SJ_SE_EEvSA_SG_RKT3_T4_EUlidE0_EEvlNS_15PhiloxCudaStateESF_SG_
                                        ; -- End function
	.section	.AMDGPU.csdata,"",@progbits
; Kernel info:
; codeLenInByte = 5784
; NumSgprs: 77
; NumVgprs: 72
; NumAgprs: 0
; TotalNumVgprs: 72
; ScratchSize: 0
; MemoryBound: 0
; FloatMode: 240
; IeeeMode: 1
; LDSByteSize: 0 bytes/workgroup (compile time only)
; SGPRBlocks: 9
; VGPRBlocks: 8
; NumSGPRsForWavesPerEU: 77
; NumVGPRsForWavesPerEU: 72
; AccumOffset: 72
; Occupancy: 7
; WaveLimiterHint : 1
; COMPUTE_PGM_RSRC2:SCRATCH_EN: 0
; COMPUTE_PGM_RSRC2:USER_SGPR: 6
; COMPUTE_PGM_RSRC2:TRAP_HANDLER: 0
; COMPUTE_PGM_RSRC2:TGID_X_EN: 1
; COMPUTE_PGM_RSRC2:TGID_Y_EN: 0
; COMPUTE_PGM_RSRC2:TGID_Z_EN: 0
; COMPUTE_PGM_RSRC2:TIDIG_COMP_CNT: 0
; COMPUTE_PGM_RSRC3_GFX90A:ACCUM_OFFSET: 17
; COMPUTE_PGM_RSRC3_GFX90A:TG_SPLIT: 0
	.section	.text._ZN2at6native12_GLOBAL__N_143distribution_elementwise_grid_stride_kernelIdLi2EZNS0_9templates4cuda21uniform_and_transformIddPNS_17CUDAGeneratorImplEZZZNS4_16geometric_kernelIS7_EEvRNS_18TensorIteratorBaseEdT_ENKUlvE_clEvENKUlvE4_clEvEUldE_EEvSA_T1_T2_EUlP25hiprandStatePhilox4_32_10E0_ZNS1_27distribution_nullary_kernelIdd15HIP_vector_typeIfLj4EES7_SJ_SE_EEvSA_SG_RKT3_T4_EUlidE_EEvlNS_15PhiloxCudaStateESF_SG_,"axG",@progbits,_ZN2at6native12_GLOBAL__N_143distribution_elementwise_grid_stride_kernelIdLi2EZNS0_9templates4cuda21uniform_and_transformIddPNS_17CUDAGeneratorImplEZZZNS4_16geometric_kernelIS7_EEvRNS_18TensorIteratorBaseEdT_ENKUlvE_clEvENKUlvE4_clEvEUldE_EEvSA_T1_T2_EUlP25hiprandStatePhilox4_32_10E0_ZNS1_27distribution_nullary_kernelIdd15HIP_vector_typeIfLj4EES7_SJ_SE_EEvSA_SG_RKT3_T4_EUlidE_EEvlNS_15PhiloxCudaStateESF_SG_,comdat
	.globl	_ZN2at6native12_GLOBAL__N_143distribution_elementwise_grid_stride_kernelIdLi2EZNS0_9templates4cuda21uniform_and_transformIddPNS_17CUDAGeneratorImplEZZZNS4_16geometric_kernelIS7_EEvRNS_18TensorIteratorBaseEdT_ENKUlvE_clEvENKUlvE4_clEvEUldE_EEvSA_T1_T2_EUlP25hiprandStatePhilox4_32_10E0_ZNS1_27distribution_nullary_kernelIdd15HIP_vector_typeIfLj4EES7_SJ_SE_EEvSA_SG_RKT3_T4_EUlidE_EEvlNS_15PhiloxCudaStateESF_SG_ ; -- Begin function _ZN2at6native12_GLOBAL__N_143distribution_elementwise_grid_stride_kernelIdLi2EZNS0_9templates4cuda21uniform_and_transformIddPNS_17CUDAGeneratorImplEZZZNS4_16geometric_kernelIS7_EEvRNS_18TensorIteratorBaseEdT_ENKUlvE_clEvENKUlvE4_clEvEUldE_EEvSA_T1_T2_EUlP25hiprandStatePhilox4_32_10E0_ZNS1_27distribution_nullary_kernelIdd15HIP_vector_typeIfLj4EES7_SJ_SE_EEvSA_SG_RKT3_T4_EUlidE_EEvlNS_15PhiloxCudaStateESF_SG_
	.p2align	8
	.type	_ZN2at6native12_GLOBAL__N_143distribution_elementwise_grid_stride_kernelIdLi2EZNS0_9templates4cuda21uniform_and_transformIddPNS_17CUDAGeneratorImplEZZZNS4_16geometric_kernelIS7_EEvRNS_18TensorIteratorBaseEdT_ENKUlvE_clEvENKUlvE4_clEvEUldE_EEvSA_T1_T2_EUlP25hiprandStatePhilox4_32_10E0_ZNS1_27distribution_nullary_kernelIdd15HIP_vector_typeIfLj4EES7_SJ_SE_EEvSA_SG_RKT3_T4_EUlidE_EEvlNS_15PhiloxCudaStateESF_SG_,@function
_ZN2at6native12_GLOBAL__N_143distribution_elementwise_grid_stride_kernelIdLi2EZNS0_9templates4cuda21uniform_and_transformIddPNS_17CUDAGeneratorImplEZZZNS4_16geometric_kernelIS7_EEvRNS_18TensorIteratorBaseEdT_ENKUlvE_clEvENKUlvE4_clEvEUldE_EEvSA_T1_T2_EUlP25hiprandStatePhilox4_32_10E0_ZNS1_27distribution_nullary_kernelIdd15HIP_vector_typeIfLj4EES7_SJ_SE_EEvSA_SG_RKT3_T4_EUlidE_EEvlNS_15PhiloxCudaStateESF_SG_: ; @_ZN2at6native12_GLOBAL__N_143distribution_elementwise_grid_stride_kernelIdLi2EZNS0_9templates4cuda21uniform_and_transformIddPNS_17CUDAGeneratorImplEZZZNS4_16geometric_kernelIS7_EEvRNS_18TensorIteratorBaseEdT_ENKUlvE_clEvENKUlvE4_clEvEUldE_EEvSA_T1_T2_EUlP25hiprandStatePhilox4_32_10E0_ZNS1_27distribution_nullary_kernelIdd15HIP_vector_typeIfLj4EES7_SJ_SE_EEvSA_SG_RKT3_T4_EUlidE_EEvlNS_15PhiloxCudaStateESF_SG_
; %bb.0:
	s_load_dword s7, s[4:5], 0x20
	s_load_dwordx2 s[10:11], s[4:5], 0x10
	s_load_dwordx4 s[0:3], s[4:5], 0x0
	s_mov_b32 s8, 0
	s_waitcnt lgkmcnt(0)
	s_bitcmp0_b32 s7, 0
	v_pk_mov_b32 v[2:3], s[10:11], s[10:11] op_sel:[0,1]
	v_pk_mov_b32 v[10:11], s[2:3], s[2:3] op_sel:[0,1]
	s_cbranch_scc1 .LBB22_2
; %bb.1:
	v_pk_mov_b32 v[2:3], s[10:11], s[10:11] op_sel:[0,1]
	flat_load_dwordx2 v[2:3], v[2:3]
	v_pk_mov_b32 v[4:5], s[2:3], s[2:3] op_sel:[0,1]
	flat_load_dwordx2 v[10:11], v[4:5]
	s_load_dwordx2 s[2:3], s[4:5], 0x18
	s_waitcnt lgkmcnt(0)
	v_mov_b32_e32 v1, s3
	s_waitcnt vmcnt(0)
	v_add_co_u32_e32 v2, vcc, s2, v2
	v_addc_co_u32_e32 v3, vcc, v3, v1, vcc
.LBB22_2:
	s_load_dword s2, s[4:5], 0x54
	s_load_dword s18, s[4:5], 0x48
	s_waitcnt lgkmcnt(0)
	s_and_b32 s7, s2, 0xffff
	s_add_u32 s10, s0, -1
	s_mul_i32 s20, s18, s7
	s_addc_u32 s9, s1, -1
	s_lshl_b32 s21, s20, 1
	s_cmp_lg_u64 s[8:9], 0
	s_mov_b64 s[2:3], -1
	s_cbranch_scc0 .LBB22_23
; %bb.3:
	v_cvt_f32_u32_e32 v1, s21
	v_cvt_f32_ubyte0_e32 v4, 0
	s_sub_u32 s8, 0, s21
	s_subb_u32 s11, 0, 0
	v_madmk_f32 v1, v4, 0x4f800000, v1
	v_rcp_f32_e32 v1, v1
	v_mul_f32_e32 v1, 0x5f7ffffc, v1
	v_mul_f32_e32 v4, 0x2f800000, v1
	v_trunc_f32_e32 v4, v4
	v_madmk_f32 v1, v4, 0xcf800000, v1
	v_cvt_u32_f32_e32 v4, v4
	v_cvt_u32_f32_e32 v1, v1
	v_readfirstlane_b32 s12, v4
	v_readfirstlane_b32 s13, v1
	s_mul_i32 s14, s8, s12
	s_mul_hi_u32 s16, s8, s13
	s_mul_i32 s15, s11, s13
	s_add_i32 s14, s16, s14
	s_add_i32 s14, s14, s15
	s_mul_i32 s17, s8, s13
	s_mul_hi_u32 s15, s13, s14
	s_mul_i32 s16, s13, s14
	s_mul_hi_u32 s13, s13, s17
	s_add_u32 s13, s13, s16
	s_addc_u32 s15, 0, s15
	s_mul_hi_u32 s19, s12, s17
	s_mul_i32 s17, s12, s17
	s_add_u32 s13, s13, s17
	s_mul_hi_u32 s16, s12, s14
	s_addc_u32 s13, s15, s19
	s_addc_u32 s15, s16, 0
	s_mul_i32 s14, s12, s14
	s_add_u32 s13, s13, s14
	s_addc_u32 s14, 0, s15
	v_add_co_u32_e32 v1, vcc, s13, v1
	s_cmp_lg_u64 vcc, 0
	s_addc_u32 s12, s12, s14
	v_readfirstlane_b32 s14, v1
	s_mul_i32 s13, s8, s12
	s_mul_hi_u32 s15, s8, s14
	s_add_i32 s13, s15, s13
	s_mul_i32 s11, s11, s14
	s_add_i32 s13, s13, s11
	s_mul_i32 s8, s8, s14
	s_mul_hi_u32 s15, s12, s8
	s_mul_i32 s16, s12, s8
	s_mul_i32 s19, s14, s13
	s_mul_hi_u32 s8, s14, s8
	s_mul_hi_u32 s17, s14, s13
	s_add_u32 s8, s8, s19
	s_addc_u32 s14, 0, s17
	s_add_u32 s8, s8, s16
	s_mul_hi_u32 s11, s12, s13
	s_addc_u32 s8, s14, s15
	s_addc_u32 s11, s11, 0
	s_mul_i32 s13, s12, s13
	s_add_u32 s8, s8, s13
	s_addc_u32 s11, 0, s11
	v_add_co_u32_e32 v1, vcc, s8, v1
	s_cmp_lg_u64 vcc, 0
	s_addc_u32 s11, s12, s11
	s_ashr_i32 s12, s9, 31
	s_add_u32 s8, s10, s12
	s_mov_b32 s13, s12
	s_addc_u32 s9, s9, s12
	s_xor_b64 s[8:9], s[8:9], s[12:13]
	v_readfirstlane_b32 s16, v1
	s_mul_i32 s15, s8, s11
	s_mul_hi_u32 s17, s8, s16
	s_mul_hi_u32 s14, s8, s11
	s_add_u32 s15, s17, s15
	s_addc_u32 s14, 0, s14
	s_mul_hi_u32 s19, s9, s16
	s_mul_i32 s16, s9, s16
	s_add_u32 s15, s15, s16
	s_mul_hi_u32 s17, s9, s11
	s_addc_u32 s14, s14, s19
	s_addc_u32 s15, s17, 0
	s_mul_i32 s11, s9, s11
	s_add_u32 s11, s14, s11
	s_addc_u32 s14, 0, s15
	s_add_u32 s15, s11, 1
	s_addc_u32 s16, s14, 0
	s_add_u32 s17, s11, 2
	s_mul_i32 s22, s21, s14
	s_mul_hi_u32 s23, s21, s11
	s_addc_u32 s19, s14, 0
	s_add_i32 s23, s23, s22
	s_mul_i32 s22, s21, s11
	v_mov_b32_e32 v1, s22
	v_sub_co_u32_e32 v1, vcc, s8, v1
	s_cmp_lg_u64 vcc, 0
	s_subb_u32 s8, s9, s23
	v_subrev_co_u32_e32 v4, vcc, s21, v1
	s_cmp_lg_u64 vcc, 0
	s_subb_u32 s9, s8, 0
	v_readfirstlane_b32 s22, v4
	s_cmp_ge_u32 s22, s21
	s_cselect_b32 s22, -1, 0
	s_cmp_eq_u32 s9, 0
	s_cselect_b32 s9, s22, -1
	s_cmp_lg_u32 s9, 0
	s_cselect_b32 s9, s19, s16
	v_readfirstlane_b32 s16, v1
	s_cselect_b32 s15, s17, s15
	s_cmp_ge_u32 s16, s21
	s_cselect_b32 s16, -1, 0
	s_cmp_eq_u32 s8, 0
	s_cselect_b32 s8, s16, -1
	s_cmp_lg_u32 s8, 0
	s_cselect_b32 s9, s9, s14
	s_cselect_b32 s8, s15, s11
	s_xor_b64 s[8:9], s[8:9], s[12:13]
	s_sub_u32 s8, s8, s12
	s_subb_u32 s9, s9, s12
	s_cbranch_execnz .LBB22_5
.LBB22_4:
	v_cvt_f32_u32_e32 v1, s21
	s_sub_i32 s2, 0, s21
	s_mov_b32 s9, 0
	v_rcp_iflag_f32_e32 v1, v1
	v_mul_f32_e32 v1, 0x4f7ffffe, v1
	v_cvt_u32_f32_e32 v1, v1
	v_readfirstlane_b32 s3, v1
	s_mul_i32 s2, s2, s3
	s_mul_hi_u32 s2, s3, s2
	s_add_i32 s3, s3, s2
	s_mul_hi_u32 s2, s10, s3
	s_mul_i32 s8, s2, s21
	s_sub_i32 s8, s10, s8
	s_add_i32 s3, s2, 1
	s_sub_i32 s10, s8, s21
	s_cmp_ge_u32 s8, s21
	s_cselect_b32 s2, s3, s2
	s_cselect_b32 s8, s10, s8
	s_add_i32 s3, s2, 1
	s_cmp_ge_u32 s8, s21
	s_cselect_b32 s8, s3, s2
.LBB22_5:
	v_mov_b32_e32 v12, 0
	v_mov_b32_e32 v1, v12
	;; [unrolled: 1-line block ×3, first 2 shown]
	v_mad_u64_u32 v[14:15], s[2:3], s7, v4, v[0:1]
	s_add_u32 s2, s8, 1
	s_addc_u32 s3, s9, 0
	s_mul_hi_u32 s8, s18, s7
	s_mul_i32 s3, s20, s3
	s_mul_hi_u32 s9, s20, s2
	s_add_i32 s3, s9, s3
	s_mul_i32 s8, s8, s2
	s_add_i32 s3, s3, s8
	s_mul_i32 s2, s20, s2
	s_lshl_b64 s[2:3], s[2:3], 1
	v_cmp_gt_i64_e32 vcc, s[2:3], v[14:15]
	s_and_saveexec_b64 s[8:9], vcc
	s_cbranch_execz .LBB22_22
; %bb.6:
	s_load_dwordx2 s[8:9], s[4:5], 0x30
	s_load_dwordx2 s[16:17], s[4:5], 0x40
	s_load_dword s19, s[4:5], 0x38
	s_mov_b32 s4, 0x5384540f
	v_mov_b32_e32 v4, v11
	v_add_co_u32_e32 v34, vcc, s4, v10
	s_mov_b32 s4, 0x646e171e
	v_add_co_u32_e32 v35, vcc, s4, v4
	s_mov_b32 s4, 0x1715609d
	;; [unrolled: 2-line block ×6, first 2 shown]
	v_alignbit_b32 v41, v3, v2, 2
	s_mov_b32 s23, 0xd2511f53
	v_add_co_u32_e32 v40, vcc, s4, v10
	v_mad_u64_u32 v[6:7], s[4:5], v41, s23, 0
	v_xor_b32_e32 v1, v7, v11
	v_xor_b32_e32 v1, v1, v15
	s_mov_b32 s24, 0xcd9e8d57
	v_mad_u64_u32 v[8:9], s[4:5], v1, s24, 0
	v_xor_b32_e32 v1, v40, v9
	v_mad_u64_u32 v[16:17], s[4:5], v14, s24, 0
	v_and_b32_e32 v30, 3, v2
	v_xor_b32_e32 v1, v1, v16
	v_xor_b32_e32 v2, v10, v17
	v_lshrrev_b32_e32 v42, 2, v3
	v_mad_u64_u32 v[18:19], s[4:5], v1, s23, 0
	v_xor_b32_e32 v2, v2, v42
	v_xor_b32_e32 v1, v39, v19
	v_mad_u64_u32 v[2:3], s[4:5], v2, s23, 0
	v_xor_b32_e32 v1, v1, v2
	v_mad_u64_u32 v[16:17], s[4:5], v1, s24, 0
	s_mov_b32 s4, 0xbb67ae85
	v_add_co_u32_e32 v43, vcc, s4, v4
	v_xor_b32_e32 v2, v43, v3
	v_xor_b32_e32 v2, v2, v6
	v_xor_b32_e32 v1, v38, v17
	v_mad_u64_u32 v[2:3], s[4:5], v2, s24, 0
	v_xor_b32_e32 v1, v1, v2
	v_mad_u64_u32 v[6:7], s[4:5], v1, s23, 0
	s_mov_b32 s4, 0x3c6ef372
	v_add_co_u32_e32 v44, vcc, s4, v10
	v_xor_b32_e32 v2, v44, v3
	;; [unrolled: 8-line block ×6, first 2 shown]
	v_add_co_u32_e32 v33, vcc, 0xdb3d7428, v4
	v_xor_b32_e32 v2, v2, v8
	v_xor_b32_e32 v1, v33, v7
	v_mad_u64_u32 v[2:3], s[4:5], v2, s23, 0
	v_xor_b32_e32 v1, v1, v2
	v_mad_u64_u32 v[8:9], s[4:5], v1, s24, 0
	s_mov_b32 s4, 0x1fd5c5a3
	v_add_co_u32_e32 v49, vcc, s4, v4
	v_xor_b32_e32 v1, v49, v3
	v_xor_b32_e32 v1, v1, v18
	v_mad_u64_u32 v[2:3], s[4:5], v1, s24, 0
	s_mov_b32 s4, 0xf1bbcdc8
	v_add_u32_e32 v31, 0x8ff34781, v10
	v_xor_b32_e32 v1, v9, v2
	v_add_co_u32_e32 v50, vcc, s4, v10
	v_xor_b32_e32 v2, v31, v1
	v_xor_b32_e32 v1, v50, v3
	;; [unrolled: 1-line block ×3, first 2 shown]
	v_mad_u64_u32 v[16:17], s[4:5], v1, s23, 0
	v_xor_b32_e32 v1, v17, v6
	s_waitcnt lgkmcnt(0)
	v_add_f64 v[6:7], -s[16:17], 1.0
	v_mov_b32_e32 v3, v8
	v_add_f64 v[8:9], v[6:7], -1.0
	v_mov_b32_e32 v5, v16
	v_add_f64 v[16:17], v[8:9], -v[6:7]
	v_add_f64 v[16:17], v[16:17], 1.0
	v_add_f64 v[8:9], -s[16:17], -v[8:9]
	s_mov_b32 s4, 0x55555555
	v_add_u32_e32 v32, 0x96a522ad, v11
	v_add_f64 v[8:9], v[8:9], v[16:17]
	v_frexp_mant_f64_e32 v[16:17], v[6:7]
	s_mov_b32 s5, 0x3fe55555
	v_xor_b32_e32 v4, v32, v1
	v_frexp_exp_i32_f64_e32 v1, v[6:7]
	v_cmp_gt_f64_e32 vcc, s[4:5], v[16:17]
	v_subbrev_co_u32_e32 v1, vcc, 0, v1, vcc
	v_sub_u32_e32 v13, 0, v1
	v_ldexp_f64 v[6:7], v[6:7], v13
	v_add_f64 v[16:17], v[6:7], -1.0
	v_add_f64 v[22:23], v[6:7], 1.0
	v_add_f64 v[18:19], v[16:17], 1.0
	v_add_f64 v[24:25], v[22:23], -1.0
	v_ldexp_f64 v[8:9], v[8:9], v13
	v_add_f64 v[18:19], v[6:7], -v[18:19]
	v_add_f64 v[6:7], v[6:7], -v[24:25]
	v_add_f64 v[6:7], v[8:9], v[6:7]
	v_add_f64 v[18:19], v[8:9], v[18:19]
	v_add_f64 v[8:9], v[22:23], v[6:7]
	v_rcp_f64_e32 v[24:25], v[8:9]
	v_add_f64 v[20:21], v[16:17], v[18:19]
	v_add_f64 v[16:17], v[20:21], -v[16:17]
	v_add_f64 v[16:17], v[18:19], -v[16:17]
	;; [unrolled: 1-line block ×4, first 2 shown]
	v_fma_f64 v[18:19], -v[8:9], v[24:25], 1.0
	v_fmac_f64_e32 v[24:25], v[18:19], v[24:25]
	v_fma_f64 v[18:19], -v[8:9], v[24:25], 1.0
	v_fmac_f64_e32 v[24:25], v[18:19], v[24:25]
	v_mul_f64 v[18:19], v[20:21], v[24:25]
	v_mul_f64 v[22:23], v[8:9], v[18:19]
	v_fma_f64 v[26:27], v[18:19], v[8:9], -v[22:23]
	v_fmac_f64_e32 v[26:27], v[18:19], v[6:7]
	v_add_f64 v[28:29], v[22:23], v[26:27]
	v_add_f64 v[52:53], v[20:21], -v[28:29]
	v_add_f64 v[20:21], v[20:21], -v[52:53]
	;; [unrolled: 1-line block ×4, first 2 shown]
	v_add_f64 v[16:17], v[16:17], v[20:21]
	v_add_f64 v[20:21], v[22:23], -v[26:27]
	v_add_f64 v[16:17], v[20:21], v[16:17]
	v_add_f64 v[20:21], v[52:53], v[16:17]
	v_add_f64 v[22:23], v[52:53], -v[20:21]
	v_add_f64 v[16:17], v[16:17], v[22:23]
	v_mul_f64 v[22:23], v[24:25], v[20:21]
	v_mul_f64 v[26:27], v[8:9], v[22:23]
	v_fma_f64 v[8:9], v[22:23], v[8:9], -v[26:27]
	v_fmac_f64_e32 v[8:9], v[22:23], v[6:7]
	v_add_f64 v[6:7], v[26:27], v[8:9]
	v_add_f64 v[28:29], v[20:21], -v[6:7]
	v_add_f64 v[20:21], v[20:21], -v[28:29]
	v_add_f64 v[26:27], v[6:7], -v[26:27]
	v_add_f64 v[6:7], v[20:21], -v[6:7]
	v_add_f64 v[6:7], v[16:17], v[6:7]
	v_add_f64 v[8:9], v[26:27], -v[8:9]
	v_add_f64 v[6:7], v[8:9], v[6:7]
	v_add_f64 v[8:9], v[18:19], v[22:23]
	v_add_f64 v[6:7], v[28:29], v[6:7]
	v_add_f64 v[16:17], v[8:9], -v[18:19]
	v_mul_f64 v[6:7], v[24:25], v[6:7]
	v_add_f64 v[16:17], v[22:23], -v[16:17]
	v_add_f64 v[6:7], v[16:17], v[6:7]
	v_add_f64 v[28:29], v[8:9], v[6:7]
	v_add_f64 v[8:9], v[28:29], -v[8:9]
	v_mov_b32_e32 v16, 0x6b47b09a
	v_mov_b32_e32 v17, 0x3fc38538
	s_mov_b32 s10, 0xbf559e2b
	v_add_f64 v[6:7], v[6:7], -v[8:9]
	v_mul_f64 v[8:9], v[28:29], v[28:29]
	s_mov_b32 s11, 0x3fc3ab76
	v_pk_mov_b32 v[20:21], v[16:17], v[16:17] op_sel:[0,1]
	v_mov_b32_e32 v18, 0xd7f4df2e
	v_mov_b32_e32 v19, 0x3fc7474d
	v_fmac_f64_e32 v[20:21], s[10:11], v[8:9]
	v_pk_mov_b32 v[22:23], v[18:19], v[18:19] op_sel:[0,1]
	v_fmac_f64_e32 v[22:23], v[8:9], v[20:21]
	v_mov_b32_e32 v20, 0x16291751
	v_mov_b32_e32 v21, 0x3fcc71c0
	v_pk_mov_b32 v[24:25], v[20:21], v[20:21] op_sel:[0,1]
	v_fmac_f64_e32 v[24:25], v[8:9], v[22:23]
	v_mov_b32_e32 v22, 0x9b27acf1
	v_mov_b32_e32 v23, 0x3fd24924
	;; [unrolled: 4-line block ×4, first 2 shown]
	v_pk_mov_b32 v[54:55], v[26:27], v[26:27] op_sel:[0,1]
	s_mov_b32 s12, 0xfefa39ef
	v_fmac_f64_e32 v[54:55], v[8:9], v[52:53]
	v_cvt_f64_i32_e32 v[52:53], v1
	s_mov_b32 s13, 0x3fe62e42
	v_mul_f64 v[56:57], v[52:53], s[12:13]
	s_mov_b32 s14, 0x3b39803f
	v_fma_f64 v[58:59], v[52:53], s[12:13], -v[56:57]
	s_mov_b32 s15, 0x3c7abc9e
	v_fmac_f64_e32 v[58:59], s[14:15], v[52:53]
	v_add_f64 v[52:53], v[56:57], v[58:59]
	v_add_f64 v[56:57], v[52:53], -v[56:57]
	v_mul_f64 v[8:9], v[28:29], v[8:9]
	v_add_f64 v[56:57], v[58:59], -v[56:57]
	v_ldexp_f64 v[58:59], v[28:29], 1
	v_mul_f64 v[8:9], v[8:9], v[54:55]
	v_add_f64 v[28:29], v[58:59], v[8:9]
	v_add_f64 v[54:55], v[28:29], -v[58:59]
	v_ldexp_f64 v[6:7], v[6:7], 1
	v_add_f64 v[8:9], v[8:9], -v[54:55]
	v_add_f64 v[6:7], v[6:7], v[8:9]
	v_add_f64 v[8:9], v[28:29], v[6:7]
	v_add_f64 v[28:29], v[8:9], -v[28:29]
	v_add_f64 v[6:7], v[6:7], -v[28:29]
	v_add_f64 v[28:29], v[52:53], v[8:9]
	v_add_f64 v[54:55], v[28:29], -v[52:53]
	v_add_f64 v[58:59], v[28:29], -v[54:55]
	;; [unrolled: 1-line block ×4, first 2 shown]
	v_add_f64 v[8:9], v[8:9], v[52:53]
	v_add_f64 v[52:53], v[56:57], v[6:7]
	v_add_f64 v[54:55], v[52:53], -v[56:57]
	v_add_f64 v[8:9], v[52:53], v[8:9]
	v_add_f64 v[58:59], v[52:53], -v[54:55]
	;; [unrolled: 2-line block ×3, first 2 shown]
	v_add_f64 v[6:7], v[6:7], -v[54:55]
	v_add_f64 v[28:29], v[52:53], -v[28:29]
	v_add_f64 v[6:7], v[6:7], v[56:57]
	v_add_f64 v[8:9], v[8:9], -v[28:29]
	v_add_f64 v[6:7], v[6:7], v[8:9]
	v_mov_b32_e32 v8, 0
	v_mov_b32_e32 v9, 0xfff00000
	s_xor_b32 s25, s17, 0x80000000
	v_add_f64 v[6:7], v[52:53], v[6:7]
	v_mov_b32_e32 v1, s16
	v_cmp_eq_f64_e32 vcc, s[16:17], v[8:9]
	v_cndmask_b32_e32 v1, v6, v1, vcc
	v_mov_b32_e32 v6, s25
	v_cndmask_b32_e32 v6, v7, v6, vcc
	v_mov_b32_e32 v7, 0x7ff80000
	v_cmp_ngt_f64_e64 vcc, s[16:17], 1.0
	v_cndmask_b32_e32 v6, v7, v6, vcc
	v_cmp_nge_f64_e64 vcc, s[16:17], 1.0
	v_cndmask_b32_e32 v28, 0, v1, vcc
	v_cmp_neq_f64_e64 vcc, s[16:17], 1.0
	s_mul_i32 s16, s6, s7
	s_add_i32 s6, s6, s18
	v_add_u32_e32 v1, s16, v0
	s_mul_i32 s16, s18, s19
	s_mul_i32 s6, s6, s7
	s_mov_b32 s22, 0
	v_mov_b32_e32 v51, 0xfff00000
	s_mul_i32 s16, s16, s7
	v_add_u32_e32 v0, s6, v0
	v_cndmask_b32_e32 v29, v51, v6, vcc
	v_mul_lo_u32 v52, s19, v1
	s_lshl_b32 s25, s16, 1
	v_mul_lo_u32 v53, s19, v0
	s_mov_b64 s[6:7], 0
	s_mov_b32 s26, 0x7f800000
	v_mov_b32_e32 v54, 0x3ff00000
	s_mov_b32 s27, s22
	v_mov_b32_e32 v55, v14
	v_mov_b32_e32 v56, v15
	s_branch .LBB22_8
.LBB22_7:                               ;   in Loop: Header=BB22_8 Depth=1
	s_or_b64 exec, exec, s[16:17]
	v_add_co_u32_e32 v14, vcc, s21, v14
	v_addc_co_u32_e32 v15, vcc, 0, v15, vcc
	v_mov_b32_e32 v9, v0
	s_add_i32 s27, s27, s25
	v_cmp_le_i64_e32 vcc, s[2:3], v[14:15]
	v_pk_mov_b32 v[2:3], v[6:7], v[6:7] op_sel:[0,1]
	s_or_b64 s[6:7], vcc, s[6:7]
	v_pk_mov_b32 v[4:5], v[8:9], v[8:9] op_sel:[0,1]
	s_barrier
	s_andn2_b64 exec, exec, s[6:7]
	s_cbranch_execz .LBB22_22
.LBB22_8:                               ; =>This Inner Loop Header: Depth=1
	v_add_co_u32_e32 v41, vcc, 1, v41
	v_cndmask_b32_e64 v0, 0, 1, vcc
	v_addc_co_u32_e32 v42, vcc, 0, v42, vcc
	v_cmp_eq_u32_e32 vcc, 0, v42
	v_cndmask_b32_e32 v0, 0, v0, vcc
	v_add_u32_e32 v55, v0, v55
	v_cmp_eq_u32_e32 vcc, 0, v55
	v_cndmask_b32_e32 v0, 0, v0, vcc
	v_add_u32_e32 v56, v0, v56
	v_mad_u64_u32 v[0:1], s[16:17], v41, s23, 0
	v_mad_u64_u32 v[6:7], s[16:17], v55, s24, 0
	v_xor_b32_e32 v1, v1, v11
	v_xor_b32_e32 v7, v7, v10
	v_xor_b32_e32 v1, v56, v1
	v_xor_b32_e32 v7, v42, v7
	v_mad_u64_u32 v[58:59], s[16:17], v1, s24, 0
	v_mad_u64_u32 v[8:9], s[16:17], v7, s23, 0
	v_xor_b32_e32 v1, v40, v59
	v_xor_b32_e32 v1, v1, v6
	v_xor_b32_e32 v6, v43, v9
	v_xor_b32_e32 v6, v6, v0
	;; [unrolled: 6-line block ×10, first 2 shown]
	v_mov_b32_e32 v7, v58
	v_cmp_lt_i32_e32 vcc, 1, v30
	s_and_saveexec_b64 s[16:17], vcc
	s_xor_b64 s[16:17], exec, s[16:17]
	s_cbranch_execnz .LBB22_14
; %bb.9:                                ;   in Loop: Header=BB22_8 Depth=1
	s_andn2_saveexec_b64 s[16:17], s[16:17]
	s_cbranch_execnz .LBB22_19
.LBB22_10:                              ;   in Loop: Header=BB22_8 Depth=1
	s_or_b64 exec, exec, s[16:17]
	v_cmp_gt_i64_e32 vcc, s[0:1], v[14:15]
	s_and_saveexec_b64 s[16:17], vcc
	s_cbranch_execz .LBB22_12
.LBB22_11:                              ;   in Loop: Header=BB22_8 Depth=1
	v_cvt_f32_u32_e32 v1, v2
	v_mov_b32_e32 v2, 0x2f800000
	v_add_u32_e32 v9, s27, v52
	v_ashrrev_i32_e32 v57, 31, v9
	v_fmac_f32_e32 v2, 0x2f800000, v1
	v_cvt_f64_f32_e32 v[4:5], v2
	v_frexp_mant_f64_e32 v[58:59], v[4:5]
	v_cmp_gt_f64_e32 vcc, s[4:5], v[58:59]
	v_cndmask_b32_e64 v13, v54, 2.0, vcc
	v_frexp_exp_i32_f64_e32 v60, v[4:5]
	v_mul_f64 v[58:59], v[58:59], v[12:13]
	v_subbrev_co_u32_e32 v13, vcc, 0, v60, vcc
	v_add_f64 v[60:61], v[58:59], 1.0
	v_rcp_f64_e32 v[62:63], v[60:61]
	v_add_f64 v[66:67], v[60:61], -1.0
	v_add_f64 v[64:65], v[58:59], -1.0
	v_add_f64 v[58:59], v[58:59], -v[66:67]
	v_fma_f64 v[66:67], -v[60:61], v[62:63], 1.0
	v_fmac_f64_e32 v[62:63], v[66:67], v[62:63]
	v_fma_f64 v[66:67], -v[60:61], v[62:63], 1.0
	v_fmac_f64_e32 v[62:63], v[66:67], v[62:63]
	v_mul_f64 v[66:67], v[64:65], v[62:63]
	v_mul_f64 v[68:69], v[60:61], v[66:67]
	v_fma_f64 v[60:61], v[66:67], v[60:61], -v[68:69]
	v_fmac_f64_e32 v[60:61], v[66:67], v[58:59]
	v_add_f64 v[58:59], v[68:69], v[60:61]
	v_add_f64 v[70:71], v[64:65], -v[58:59]
	v_add_f64 v[68:69], v[58:59], -v[68:69]
	;; [unrolled: 1-line block ×5, first 2 shown]
	v_add_f64 v[58:59], v[60:61], v[58:59]
	v_add_f64 v[58:59], v[70:71], v[58:59]
	v_mul_f64 v[58:59], v[62:63], v[58:59]
	v_add_f64 v[60:61], v[66:67], v[58:59]
	v_add_f64 v[62:63], v[60:61], -v[66:67]
	v_add_f64 v[58:59], v[58:59], -v[62:63]
	v_mul_f64 v[62:63], v[60:61], v[60:61]
	v_pk_mov_b32 v[64:65], v[16:17], v[16:17] op_sel:[0,1]
	v_fmac_f64_e32 v[64:65], s[10:11], v[62:63]
	v_pk_mov_b32 v[66:67], v[18:19], v[18:19] op_sel:[0,1]
	v_fmac_f64_e32 v[66:67], v[62:63], v[64:65]
	;; [unrolled: 2-line block ×6, first 2 shown]
	v_ldexp_f64 v[64:65], v[60:61], 1
	v_mul_f64 v[60:61], v[60:61], v[62:63]
	v_mul_f64 v[60:61], v[60:61], v[66:67]
	v_add_f64 v[62:63], v[64:65], v[60:61]
	v_add_f64 v[64:65], v[62:63], -v[64:65]
	v_ldexp_f64 v[58:59], v[58:59], 1
	v_add_f64 v[60:61], v[60:61], -v[64:65]
	v_add_f64 v[58:59], v[58:59], v[60:61]
	v_add_f64 v[60:61], v[62:63], v[58:59]
	v_add_f64 v[62:63], v[60:61], -v[62:63]
	v_add_f64 v[58:59], v[58:59], -v[62:63]
	v_cvt_f64_i32_e32 v[62:63], v13
	v_mul_f64 v[64:65], v[62:63], s[12:13]
	v_fma_f64 v[66:67], v[62:63], s[12:13], -v[64:65]
	v_fmac_f64_e32 v[66:67], s[14:15], v[62:63]
	v_add_f64 v[62:63], v[64:65], v[66:67]
	v_add_f64 v[64:65], v[62:63], -v[64:65]
	v_add_f64 v[64:65], v[66:67], -v[64:65]
	v_add_f64 v[66:67], v[62:63], v[60:61]
	v_add_f64 v[68:69], v[66:67], -v[62:63]
	v_add_f64 v[70:71], v[66:67], -v[68:69]
	;; [unrolled: 1-line block ×4, first 2 shown]
	v_add_f64 v[60:61], v[60:61], v[62:63]
	v_add_f64 v[62:63], v[64:65], v[58:59]
	v_add_f64 v[68:69], v[62:63], -v[64:65]
	v_add_f64 v[70:71], v[62:63], -v[68:69]
	v_add_f64 v[60:61], v[62:63], v[60:61]
	v_add_f64 v[64:65], v[64:65], -v[70:71]
	v_add_f64 v[58:59], v[58:59], -v[68:69]
	v_add_f64 v[62:63], v[66:67], v[60:61]
	v_add_f64 v[58:59], v[58:59], v[64:65]
	v_add_f64 v[64:65], v[62:63], -v[66:67]
	v_add_f64 v[60:61], v[60:61], -v[64:65]
	v_add_f64 v[58:59], v[58:59], v[60:61]
	v_add_f64 v[58:59], v[62:63], v[58:59]
	v_cmp_eq_f32_e32 vcc, s26, v2
	v_cndmask_b32_e32 v4, v58, v4, vcc
	v_cndmask_b32_e32 v5, v59, v5, vcc
	v_cmp_neq_f32_e32 vcc, 0, v2
	v_cndmask_b32_e32 v5, v51, v5, vcc
	v_cndmask_b32_e32 v4, 0, v4, vcc
	v_div_scale_f64 v[58:59], s[18:19], v[28:29], v[28:29], v[4:5]
	v_rcp_f64_e32 v[60:61], v[58:59]
	v_mov_b32_e32 v1, s9
	v_add_co_u32_e32 v62, vcc, s8, v9
	v_fma_f64 v[64:65], -v[58:59], v[60:61], 1.0
	v_fmac_f64_e32 v[60:61], v[60:61], v[64:65]
	v_addc_co_u32_e32 v63, vcc, v1, v57, vcc
	v_fma_f64 v[64:65], -v[58:59], v[60:61], 1.0
	v_fmac_f64_e32 v[60:61], v[60:61], v[64:65]
	v_div_scale_f64 v[64:65], vcc, v[4:5], v[28:29], v[4:5]
	v_mul_f64 v[66:67], v[64:65], v[60:61]
	v_fma_f64 v[58:59], -v[58:59], v[66:67], v[64:65]
	s_nop 1
	v_div_fmas_f64 v[58:59], v[58:59], v[60:61], v[66:67]
	v_div_fixup_f64 v[4:5], v[58:59], v[28:29], v[4:5]
	v_ceil_f64_e32 v[4:5], v[4:5]
	global_store_dwordx2 v[62:63], v[4:5], off
.LBB22_12:                              ;   in Loop: Header=BB22_8 Depth=1
	s_or_b64 exec, exec, s[16:17]
	v_mov_b32_e32 v1, s22
	v_add_co_u32_e32 v4, vcc, s20, v14
	v_addc_co_u32_e32 v5, vcc, v1, v15, vcc
	v_cmp_gt_i64_e32 vcc, s[0:1], v[4:5]
	s_and_saveexec_b64 s[16:17], vcc
	s_cbranch_execz .LBB22_7
; %bb.13:                               ;   in Loop: Header=BB22_8 Depth=1
	v_cvt_f32_u32_e32 v1, v3
	v_mov_b32_e32 v9, 0x2f800000
	v_add_u32_e32 v57, s27, v53
	v_ashrrev_i32_e32 v70, 31, v57
	v_fmac_f32_e32 v9, 0x2f800000, v1
	v_cvt_f64_f32_e32 v[2:3], v9
	v_frexp_mant_f64_e32 v[4:5], v[2:3]
	v_cmp_gt_f64_e32 vcc, s[4:5], v[4:5]
	v_cndmask_b32_e64 v13, v54, 2.0, vcc
	v_frexp_exp_i32_f64_e32 v58, v[2:3]
	v_mul_f64 v[4:5], v[4:5], v[12:13]
	v_subbrev_co_u32_e32 v13, vcc, 0, v58, vcc
	v_add_f64 v[58:59], v[4:5], 1.0
	v_rcp_f64_e32 v[60:61], v[58:59]
	v_add_f64 v[64:65], v[58:59], -1.0
	v_add_f64 v[62:63], v[4:5], -1.0
	v_add_f64 v[4:5], v[4:5], -v[64:65]
	v_fma_f64 v[64:65], -v[58:59], v[60:61], 1.0
	v_fmac_f64_e32 v[60:61], v[64:65], v[60:61]
	v_fma_f64 v[64:65], -v[58:59], v[60:61], 1.0
	v_fmac_f64_e32 v[60:61], v[64:65], v[60:61]
	v_mul_f64 v[64:65], v[62:63], v[60:61]
	v_mul_f64 v[66:67], v[58:59], v[64:65]
	v_fma_f64 v[58:59], v[64:65], v[58:59], -v[66:67]
	v_fmac_f64_e32 v[58:59], v[64:65], v[4:5]
	v_add_f64 v[4:5], v[66:67], v[58:59]
	v_add_f64 v[68:69], v[62:63], -v[4:5]
	v_add_f64 v[66:67], v[4:5], -v[66:67]
	;; [unrolled: 1-line block ×5, first 2 shown]
	v_add_f64 v[4:5], v[58:59], v[4:5]
	v_add_f64 v[4:5], v[68:69], v[4:5]
	v_mul_f64 v[4:5], v[60:61], v[4:5]
	v_add_f64 v[58:59], v[64:65], v[4:5]
	v_add_f64 v[60:61], v[58:59], -v[64:65]
	v_add_f64 v[4:5], v[4:5], -v[60:61]
	v_mul_f64 v[60:61], v[58:59], v[58:59]
	v_pk_mov_b32 v[62:63], v[16:17], v[16:17] op_sel:[0,1]
	v_fmac_f64_e32 v[62:63], s[10:11], v[60:61]
	v_pk_mov_b32 v[64:65], v[18:19], v[18:19] op_sel:[0,1]
	v_fmac_f64_e32 v[64:65], v[60:61], v[62:63]
	v_pk_mov_b32 v[62:63], v[20:21], v[20:21] op_sel:[0,1]
	v_fmac_f64_e32 v[62:63], v[60:61], v[64:65]
	v_pk_mov_b32 v[64:65], v[22:23], v[22:23] op_sel:[0,1]
	v_fmac_f64_e32 v[64:65], v[60:61], v[62:63]
	v_pk_mov_b32 v[62:63], v[24:25], v[24:25] op_sel:[0,1]
	v_fmac_f64_e32 v[62:63], v[60:61], v[64:65]
	v_pk_mov_b32 v[64:65], v[26:27], v[26:27] op_sel:[0,1]
	v_fmac_f64_e32 v[64:65], v[60:61], v[62:63]
	v_ldexp_f64 v[62:63], v[58:59], 1
	v_mul_f64 v[58:59], v[58:59], v[60:61]
	v_mul_f64 v[58:59], v[58:59], v[64:65]
	v_add_f64 v[60:61], v[62:63], v[58:59]
	v_add_f64 v[62:63], v[60:61], -v[62:63]
	v_ldexp_f64 v[4:5], v[4:5], 1
	v_add_f64 v[58:59], v[58:59], -v[62:63]
	v_add_f64 v[4:5], v[4:5], v[58:59]
	v_add_f64 v[58:59], v[60:61], v[4:5]
	v_add_f64 v[60:61], v[58:59], -v[60:61]
	v_add_f64 v[4:5], v[4:5], -v[60:61]
	v_cvt_f64_i32_e32 v[60:61], v13
	v_mul_f64 v[62:63], v[60:61], s[12:13]
	v_fma_f64 v[64:65], v[60:61], s[12:13], -v[62:63]
	v_fmac_f64_e32 v[64:65], s[14:15], v[60:61]
	v_add_f64 v[60:61], v[62:63], v[64:65]
	v_add_f64 v[62:63], v[60:61], -v[62:63]
	v_add_f64 v[62:63], v[64:65], -v[62:63]
	v_add_f64 v[64:65], v[60:61], v[58:59]
	v_add_f64 v[66:67], v[64:65], -v[60:61]
	v_add_f64 v[68:69], v[64:65], -v[66:67]
	;; [unrolled: 1-line block ×4, first 2 shown]
	v_add_f64 v[58:59], v[58:59], v[60:61]
	v_add_f64 v[60:61], v[62:63], v[4:5]
	v_add_f64 v[66:67], v[60:61], -v[62:63]
	v_add_f64 v[68:69], v[60:61], -v[66:67]
	v_add_f64 v[58:59], v[60:61], v[58:59]
	v_add_f64 v[62:63], v[62:63], -v[68:69]
	v_add_f64 v[4:5], v[4:5], -v[66:67]
	v_add_f64 v[60:61], v[64:65], v[58:59]
	v_add_f64 v[4:5], v[4:5], v[62:63]
	v_add_f64 v[62:63], v[60:61], -v[64:65]
	v_add_f64 v[58:59], v[58:59], -v[62:63]
	v_add_f64 v[4:5], v[4:5], v[58:59]
	v_add_f64 v[4:5], v[60:61], v[4:5]
	v_cmp_eq_f32_e32 vcc, s26, v9
	v_cndmask_b32_e32 v2, v4, v2, vcc
	v_cndmask_b32_e32 v3, v5, v3, vcc
	v_cmp_neq_f32_e32 vcc, 0, v9
	v_cndmask_b32_e32 v3, v51, v3, vcc
	v_cndmask_b32_e32 v2, 0, v2, vcc
	v_div_scale_f64 v[4:5], s[18:19], v[28:29], v[28:29], v[2:3]
	v_rcp_f64_e32 v[58:59], v[4:5]
	v_mov_b32_e32 v1, s9
	v_add_co_u32_e32 v60, vcc, s8, v57
	v_fma_f64 v[62:63], -v[4:5], v[58:59], 1.0
	v_fmac_f64_e32 v[58:59], v[58:59], v[62:63]
	v_addc_co_u32_e32 v61, vcc, v1, v70, vcc
	v_fma_f64 v[62:63], -v[4:5], v[58:59], 1.0
	v_fmac_f64_e32 v[58:59], v[58:59], v[62:63]
	v_div_scale_f64 v[62:63], vcc, v[2:3], v[28:29], v[2:3]
	v_mul_f64 v[64:65], v[62:63], v[58:59]
	v_fma_f64 v[4:5], -v[4:5], v[64:65], v[62:63]
	s_nop 1
	v_div_fmas_f64 v[4:5], v[4:5], v[58:59], v[64:65]
	v_div_fixup_f64 v[2:3], v[4:5], v[28:29], v[2:3]
	v_ceil_f64_e32 v[2:3], v[2:3]
	global_store_dwordx2 v[60:61], v[2:3], off
	s_branch .LBB22_7
.LBB22_14:                              ;   in Loop: Header=BB22_8 Depth=1
	v_cmp_lt_i32_e32 vcc, 2, v30
	s_and_saveexec_b64 s[18:19], vcc
	s_xor_b64 s[18:19], exec, s[18:19]
; %bb.15:                               ;   in Loop: Header=BB22_8 Depth=1
	v_mov_b32_e32 v2, v5
	v_mov_b32_e32 v3, v6
; %bb.16:                               ;   in Loop: Header=BB22_8 Depth=1
	s_andn2_saveexec_b64 s[18:19], s[18:19]
; %bb.17:                               ;   in Loop: Header=BB22_8 Depth=1
	v_mov_b32_e32 v2, v4
	v_mov_b32_e32 v3, v5
; %bb.18:                               ;   in Loop: Header=BB22_8 Depth=1
	s_or_b64 exec, exec, s[18:19]
	s_andn2_saveexec_b64 s[16:17], s[16:17]
	s_cbranch_execz .LBB22_10
.LBB22_19:                              ;   in Loop: Header=BB22_8 Depth=1
	v_cmp_eq_u32_e32 vcc, 1, v30
	s_and_saveexec_b64 s[18:19], vcc
; %bb.20:                               ;   in Loop: Header=BB22_8 Depth=1
	v_mov_b32_e32 v2, v3
	v_mov_b32_e32 v3, v4
; %bb.21:                               ;   in Loop: Header=BB22_8 Depth=1
	s_or_b64 exec, exec, s[18:19]
	s_or_b64 exec, exec, s[16:17]
	v_cmp_gt_i64_e32 vcc, s[0:1], v[14:15]
	s_and_saveexec_b64 s[16:17], vcc
	s_cbranch_execnz .LBB22_11
	s_branch .LBB22_12
.LBB22_22:
	s_endpgm
.LBB22_23:
                                        ; implicit-def: $sgpr8_sgpr9
	s_andn2_b64 vcc, exec, s[2:3]
	s_cbranch_vccz .LBB22_4
	s_branch .LBB22_5
	.section	.rodata,"a",@progbits
	.p2align	6, 0x0
	.amdhsa_kernel _ZN2at6native12_GLOBAL__N_143distribution_elementwise_grid_stride_kernelIdLi2EZNS0_9templates4cuda21uniform_and_transformIddPNS_17CUDAGeneratorImplEZZZNS4_16geometric_kernelIS7_EEvRNS_18TensorIteratorBaseEdT_ENKUlvE_clEvENKUlvE4_clEvEUldE_EEvSA_T1_T2_EUlP25hiprandStatePhilox4_32_10E0_ZNS1_27distribution_nullary_kernelIdd15HIP_vector_typeIfLj4EES7_SJ_SE_EEvSA_SG_RKT3_T4_EUlidE_EEvlNS_15PhiloxCudaStateESF_SG_
		.amdhsa_group_segment_fixed_size 0
		.amdhsa_private_segment_fixed_size 0
		.amdhsa_kernarg_size 328
		.amdhsa_user_sgpr_count 6
		.amdhsa_user_sgpr_private_segment_buffer 1
		.amdhsa_user_sgpr_dispatch_ptr 0
		.amdhsa_user_sgpr_queue_ptr 0
		.amdhsa_user_sgpr_kernarg_segment_ptr 1
		.amdhsa_user_sgpr_dispatch_id 0
		.amdhsa_user_sgpr_flat_scratch_init 0
		.amdhsa_user_sgpr_kernarg_preload_length 0
		.amdhsa_user_sgpr_kernarg_preload_offset 0
		.amdhsa_user_sgpr_private_segment_size 0
		.amdhsa_uses_dynamic_stack 0
		.amdhsa_system_sgpr_private_segment_wavefront_offset 0
		.amdhsa_system_sgpr_workgroup_id_x 1
		.amdhsa_system_sgpr_workgroup_id_y 0
		.amdhsa_system_sgpr_workgroup_id_z 0
		.amdhsa_system_sgpr_workgroup_info 0
		.amdhsa_system_vgpr_workitem_id 0
		.amdhsa_next_free_vgpr 72
		.amdhsa_next_free_sgpr 28
		.amdhsa_accum_offset 72
		.amdhsa_reserve_vcc 1
		.amdhsa_reserve_flat_scratch 0
		.amdhsa_float_round_mode_32 0
		.amdhsa_float_round_mode_16_64 0
		.amdhsa_float_denorm_mode_32 3
		.amdhsa_float_denorm_mode_16_64 3
		.amdhsa_dx10_clamp 1
		.amdhsa_ieee_mode 1
		.amdhsa_fp16_overflow 0
		.amdhsa_tg_split 0
		.amdhsa_exception_fp_ieee_invalid_op 0
		.amdhsa_exception_fp_denorm_src 0
		.amdhsa_exception_fp_ieee_div_zero 0
		.amdhsa_exception_fp_ieee_overflow 0
		.amdhsa_exception_fp_ieee_underflow 0
		.amdhsa_exception_fp_ieee_inexact 0
		.amdhsa_exception_int_div_zero 0
	.end_amdhsa_kernel
	.section	.text._ZN2at6native12_GLOBAL__N_143distribution_elementwise_grid_stride_kernelIdLi2EZNS0_9templates4cuda21uniform_and_transformIddPNS_17CUDAGeneratorImplEZZZNS4_16geometric_kernelIS7_EEvRNS_18TensorIteratorBaseEdT_ENKUlvE_clEvENKUlvE4_clEvEUldE_EEvSA_T1_T2_EUlP25hiprandStatePhilox4_32_10E0_ZNS1_27distribution_nullary_kernelIdd15HIP_vector_typeIfLj4EES7_SJ_SE_EEvSA_SG_RKT3_T4_EUlidE_EEvlNS_15PhiloxCudaStateESF_SG_,"axG",@progbits,_ZN2at6native12_GLOBAL__N_143distribution_elementwise_grid_stride_kernelIdLi2EZNS0_9templates4cuda21uniform_and_transformIddPNS_17CUDAGeneratorImplEZZZNS4_16geometric_kernelIS7_EEvRNS_18TensorIteratorBaseEdT_ENKUlvE_clEvENKUlvE4_clEvEUldE_EEvSA_T1_T2_EUlP25hiprandStatePhilox4_32_10E0_ZNS1_27distribution_nullary_kernelIdd15HIP_vector_typeIfLj4EES7_SJ_SE_EEvSA_SG_RKT3_T4_EUlidE_EEvlNS_15PhiloxCudaStateESF_SG_,comdat
.Lfunc_end22:
	.size	_ZN2at6native12_GLOBAL__N_143distribution_elementwise_grid_stride_kernelIdLi2EZNS0_9templates4cuda21uniform_and_transformIddPNS_17CUDAGeneratorImplEZZZNS4_16geometric_kernelIS7_EEvRNS_18TensorIteratorBaseEdT_ENKUlvE_clEvENKUlvE4_clEvEUldE_EEvSA_T1_T2_EUlP25hiprandStatePhilox4_32_10E0_ZNS1_27distribution_nullary_kernelIdd15HIP_vector_typeIfLj4EES7_SJ_SE_EEvSA_SG_RKT3_T4_EUlidE_EEvlNS_15PhiloxCudaStateESF_SG_, .Lfunc_end22-_ZN2at6native12_GLOBAL__N_143distribution_elementwise_grid_stride_kernelIdLi2EZNS0_9templates4cuda21uniform_and_transformIddPNS_17CUDAGeneratorImplEZZZNS4_16geometric_kernelIS7_EEvRNS_18TensorIteratorBaseEdT_ENKUlvE_clEvENKUlvE4_clEvEUldE_EEvSA_T1_T2_EUlP25hiprandStatePhilox4_32_10E0_ZNS1_27distribution_nullary_kernelIdd15HIP_vector_typeIfLj4EES7_SJ_SE_EEvSA_SG_RKT3_T4_EUlidE_EEvlNS_15PhiloxCudaStateESF_SG_
                                        ; -- End function
	.section	.AMDGPU.csdata,"",@progbits
; Kernel info:
; codeLenInByte = 4684
; NumSgprs: 32
; NumVgprs: 72
; NumAgprs: 0
; TotalNumVgprs: 72
; ScratchSize: 0
; MemoryBound: 0
; FloatMode: 240
; IeeeMode: 1
; LDSByteSize: 0 bytes/workgroup (compile time only)
; SGPRBlocks: 3
; VGPRBlocks: 8
; NumSGPRsForWavesPerEU: 32
; NumVGPRsForWavesPerEU: 72
; AccumOffset: 72
; Occupancy: 7
; WaveLimiterHint : 0
; COMPUTE_PGM_RSRC2:SCRATCH_EN: 0
; COMPUTE_PGM_RSRC2:USER_SGPR: 6
; COMPUTE_PGM_RSRC2:TRAP_HANDLER: 0
; COMPUTE_PGM_RSRC2:TGID_X_EN: 1
; COMPUTE_PGM_RSRC2:TGID_Y_EN: 0
; COMPUTE_PGM_RSRC2:TGID_Z_EN: 0
; COMPUTE_PGM_RSRC2:TIDIG_COMP_CNT: 0
; COMPUTE_PGM_RSRC3_GFX90A:ACCUM_OFFSET: 17
; COMPUTE_PGM_RSRC3_GFX90A:TG_SPLIT: 0
	.section	.text._ZN2at6native12_GLOBAL__N_143distribution_elementwise_grid_stride_kernelIdLi2EZNS0_9templates4cuda21uniform_and_transformIddPNS_17CUDAGeneratorImplEZZZNS4_16geometric_kernelIS7_EEvRNS_18TensorIteratorBaseEdT_ENKUlvE_clEvENKUlvE4_clEvEUldE_EEvSA_T1_T2_EUlP25hiprandStatePhilox4_32_10E0_ZNS1_27distribution_nullary_kernelIdd15HIP_vector_typeIfLj4EES7_SJ_SE_EEvSA_SG_RKT3_T4_EUlidE0_EEvlNS_15PhiloxCudaStateESF_SG_,"axG",@progbits,_ZN2at6native12_GLOBAL__N_143distribution_elementwise_grid_stride_kernelIdLi2EZNS0_9templates4cuda21uniform_and_transformIddPNS_17CUDAGeneratorImplEZZZNS4_16geometric_kernelIS7_EEvRNS_18TensorIteratorBaseEdT_ENKUlvE_clEvENKUlvE4_clEvEUldE_EEvSA_T1_T2_EUlP25hiprandStatePhilox4_32_10E0_ZNS1_27distribution_nullary_kernelIdd15HIP_vector_typeIfLj4EES7_SJ_SE_EEvSA_SG_RKT3_T4_EUlidE0_EEvlNS_15PhiloxCudaStateESF_SG_,comdat
	.globl	_ZN2at6native12_GLOBAL__N_143distribution_elementwise_grid_stride_kernelIdLi2EZNS0_9templates4cuda21uniform_and_transformIddPNS_17CUDAGeneratorImplEZZZNS4_16geometric_kernelIS7_EEvRNS_18TensorIteratorBaseEdT_ENKUlvE_clEvENKUlvE4_clEvEUldE_EEvSA_T1_T2_EUlP25hiprandStatePhilox4_32_10E0_ZNS1_27distribution_nullary_kernelIdd15HIP_vector_typeIfLj4EES7_SJ_SE_EEvSA_SG_RKT3_T4_EUlidE0_EEvlNS_15PhiloxCudaStateESF_SG_ ; -- Begin function _ZN2at6native12_GLOBAL__N_143distribution_elementwise_grid_stride_kernelIdLi2EZNS0_9templates4cuda21uniform_and_transformIddPNS_17CUDAGeneratorImplEZZZNS4_16geometric_kernelIS7_EEvRNS_18TensorIteratorBaseEdT_ENKUlvE_clEvENKUlvE4_clEvEUldE_EEvSA_T1_T2_EUlP25hiprandStatePhilox4_32_10E0_ZNS1_27distribution_nullary_kernelIdd15HIP_vector_typeIfLj4EES7_SJ_SE_EEvSA_SG_RKT3_T4_EUlidE0_EEvlNS_15PhiloxCudaStateESF_SG_
	.p2align	8
	.type	_ZN2at6native12_GLOBAL__N_143distribution_elementwise_grid_stride_kernelIdLi2EZNS0_9templates4cuda21uniform_and_transformIddPNS_17CUDAGeneratorImplEZZZNS4_16geometric_kernelIS7_EEvRNS_18TensorIteratorBaseEdT_ENKUlvE_clEvENKUlvE4_clEvEUldE_EEvSA_T1_T2_EUlP25hiprandStatePhilox4_32_10E0_ZNS1_27distribution_nullary_kernelIdd15HIP_vector_typeIfLj4EES7_SJ_SE_EEvSA_SG_RKT3_T4_EUlidE0_EEvlNS_15PhiloxCudaStateESF_SG_,@function
_ZN2at6native12_GLOBAL__N_143distribution_elementwise_grid_stride_kernelIdLi2EZNS0_9templates4cuda21uniform_and_transformIddPNS_17CUDAGeneratorImplEZZZNS4_16geometric_kernelIS7_EEvRNS_18TensorIteratorBaseEdT_ENKUlvE_clEvENKUlvE4_clEvEUldE_EEvSA_T1_T2_EUlP25hiprandStatePhilox4_32_10E0_ZNS1_27distribution_nullary_kernelIdd15HIP_vector_typeIfLj4EES7_SJ_SE_EEvSA_SG_RKT3_T4_EUlidE0_EEvlNS_15PhiloxCudaStateESF_SG_: ; @_ZN2at6native12_GLOBAL__N_143distribution_elementwise_grid_stride_kernelIdLi2EZNS0_9templates4cuda21uniform_and_transformIddPNS_17CUDAGeneratorImplEZZZNS4_16geometric_kernelIS7_EEvRNS_18TensorIteratorBaseEdT_ENKUlvE_clEvENKUlvE4_clEvEUldE_EEvSA_T1_T2_EUlP25hiprandStatePhilox4_32_10E0_ZNS1_27distribution_nullary_kernelIdd15HIP_vector_typeIfLj4EES7_SJ_SE_EEvSA_SG_RKT3_T4_EUlidE0_EEvlNS_15PhiloxCudaStateESF_SG_
; %bb.0:
	s_load_dword s2, s[4:5], 0x20
	s_load_dwordx2 s[0:1], s[4:5], 0x10
	s_load_dwordx4 s[24:27], s[4:5], 0x0
	s_waitcnt lgkmcnt(0)
	s_bitcmp0_b32 s2, 0
	s_mov_b32 s2, 0
	v_pk_mov_b32 v[2:3], s[0:1], s[0:1] op_sel:[0,1]
	v_pk_mov_b32 v[8:9], s[26:27], s[26:27] op_sel:[0,1]
	s_cbranch_scc1 .LBB23_2
; %bb.1:
	v_pk_mov_b32 v[2:3], s[0:1], s[0:1] op_sel:[0,1]
	flat_load_dwordx2 v[2:3], v[2:3]
	v_pk_mov_b32 v[4:5], s[26:27], s[26:27] op_sel:[0,1]
	flat_load_dwordx2 v[8:9], v[4:5]
	s_load_dwordx2 s[0:1], s[4:5], 0x18
	s_waitcnt lgkmcnt(0)
	v_mov_b32_e32 v1, s1
	s_waitcnt vmcnt(0)
	v_add_co_u32_e32 v2, vcc, s0, v2
	v_addc_co_u32_e32 v3, vcc, v3, v1, vcc
.LBB23_2:
	s_load_dword s0, s[4:5], 0x154
	s_load_dword s7, s[4:5], 0x148
	s_waitcnt lgkmcnt(0)
	s_and_b32 s8, s0, 0xffff
	s_add_u32 s9, s24, -1
	s_mul_i32 s33, s7, s8
	s_addc_u32 s3, s25, -1
	s_lshl_b32 s66, s33, 1
	s_cmp_lg_u64 s[2:3], 0
	s_mov_b64 s[0:1], -1
	s_cbranch_scc0 .LBB23_51
; %bb.3:
	v_cvt_f32_u32_e32 v1, s66
	v_cvt_f32_ubyte0_e32 v4, 0
	s_sub_u32 s2, 0, s66
	s_subb_u32 s10, 0, 0
	v_madmk_f32 v1, v4, 0x4f800000, v1
	v_rcp_f32_e32 v1, v1
	v_mul_f32_e32 v1, 0x5f7ffffc, v1
	v_mul_f32_e32 v4, 0x2f800000, v1
	v_trunc_f32_e32 v4, v4
	v_madmk_f32 v1, v4, 0xcf800000, v1
	v_cvt_u32_f32_e32 v4, v4
	v_cvt_u32_f32_e32 v1, v1
	v_readfirstlane_b32 s11, v4
	v_readfirstlane_b32 s12, v1
	s_mul_i32 s13, s2, s11
	s_mul_hi_u32 s15, s2, s12
	s_mul_i32 s14, s10, s12
	s_add_i32 s13, s15, s13
	s_add_i32 s13, s13, s14
	s_mul_i32 s16, s2, s12
	s_mul_hi_u32 s14, s12, s13
	s_mul_i32 s15, s12, s13
	s_mul_hi_u32 s12, s12, s16
	s_add_u32 s12, s12, s15
	s_addc_u32 s14, 0, s14
	s_mul_hi_u32 s17, s11, s16
	s_mul_i32 s16, s11, s16
	s_add_u32 s12, s12, s16
	s_mul_hi_u32 s15, s11, s13
	s_addc_u32 s12, s14, s17
	s_addc_u32 s14, s15, 0
	s_mul_i32 s13, s11, s13
	s_add_u32 s12, s12, s13
	s_addc_u32 s13, 0, s14
	v_add_co_u32_e32 v1, vcc, s12, v1
	s_cmp_lg_u64 vcc, 0
	s_addc_u32 s11, s11, s13
	v_readfirstlane_b32 s13, v1
	s_mul_i32 s12, s2, s11
	s_mul_hi_u32 s14, s2, s13
	s_add_i32 s12, s14, s12
	s_mul_i32 s10, s10, s13
	s_add_i32 s12, s12, s10
	s_mul_i32 s2, s2, s13
	s_mul_hi_u32 s14, s11, s2
	s_mul_i32 s15, s11, s2
	s_mul_i32 s17, s13, s12
	s_mul_hi_u32 s2, s13, s2
	s_mul_hi_u32 s16, s13, s12
	s_add_u32 s2, s2, s17
	s_addc_u32 s13, 0, s16
	s_add_u32 s2, s2, s15
	s_mul_hi_u32 s10, s11, s12
	s_addc_u32 s2, s13, s14
	s_addc_u32 s10, s10, 0
	s_mul_i32 s12, s11, s12
	s_add_u32 s2, s2, s12
	s_addc_u32 s10, 0, s10
	v_add_co_u32_e32 v1, vcc, s2, v1
	s_cmp_lg_u64 vcc, 0
	s_addc_u32 s12, s11, s10
	s_ashr_i32 s10, s3, 31
	s_add_u32 s2, s9, s10
	s_mov_b32 s11, s10
	s_addc_u32 s3, s3, s10
	s_xor_b64 s[2:3], s[2:3], s[10:11]
	v_readfirstlane_b32 s15, v1
	s_mul_i32 s14, s2, s12
	s_mul_hi_u32 s16, s2, s15
	s_mul_hi_u32 s13, s2, s12
	s_add_u32 s14, s16, s14
	s_addc_u32 s13, 0, s13
	s_mul_hi_u32 s17, s3, s15
	s_mul_i32 s15, s3, s15
	s_add_u32 s14, s14, s15
	s_mul_hi_u32 s16, s3, s12
	s_addc_u32 s13, s13, s17
	s_addc_u32 s14, s16, 0
	s_mul_i32 s12, s3, s12
	s_add_u32 s12, s13, s12
	s_addc_u32 s13, 0, s14
	s_add_u32 s14, s12, 1
	s_addc_u32 s15, s13, 0
	s_add_u32 s16, s12, 2
	s_mul_i32 s18, s66, s13
	s_mul_hi_u32 s19, s66, s12
	s_addc_u32 s17, s13, 0
	s_add_i32 s19, s19, s18
	s_mul_i32 s18, s66, s12
	v_mov_b32_e32 v1, s18
	v_sub_co_u32_e32 v1, vcc, s2, v1
	s_cmp_lg_u64 vcc, 0
	s_subb_u32 s2, s3, s19
	v_subrev_co_u32_e32 v4, vcc, s66, v1
	s_cmp_lg_u64 vcc, 0
	s_subb_u32 s3, s2, 0
	v_readfirstlane_b32 s18, v4
	s_cmp_ge_u32 s18, s66
	s_cselect_b32 s18, -1, 0
	s_cmp_eq_u32 s3, 0
	s_cselect_b32 s3, s18, -1
	s_cmp_lg_u32 s3, 0
	s_cselect_b32 s3, s17, s15
	v_readfirstlane_b32 s15, v1
	s_cselect_b32 s14, s16, s14
	s_cmp_ge_u32 s15, s66
	s_cselect_b32 s15, -1, 0
	s_cmp_eq_u32 s2, 0
	s_cselect_b32 s2, s15, -1
	s_cmp_lg_u32 s2, 0
	s_cselect_b32 s3, s3, s13
	s_cselect_b32 s2, s14, s12
	s_xor_b64 s[2:3], s[2:3], s[10:11]
	s_sub_u32 s2, s2, s10
	s_subb_u32 s3, s3, s10
	s_cbranch_execnz .LBB23_5
.LBB23_4:
	v_cvt_f32_u32_e32 v1, s66
	s_sub_i32 s0, 0, s66
	s_mov_b32 s3, 0
	v_rcp_iflag_f32_e32 v1, v1
	v_mul_f32_e32 v1, 0x4f7ffffe, v1
	v_cvt_u32_f32_e32 v1, v1
	v_readfirstlane_b32 s1, v1
	s_mul_i32 s0, s0, s1
	s_mul_hi_u32 s0, s1, s0
	s_add_i32 s1, s1, s0
	s_mul_hi_u32 s0, s9, s1
	s_mul_i32 s2, s0, s66
	s_sub_i32 s2, s9, s2
	s_add_i32 s1, s0, 1
	s_sub_i32 s9, s2, s66
	s_cmp_ge_u32 s2, s66
	s_cselect_b32 s0, s1, s0
	s_cselect_b32 s2, s9, s2
	s_add_i32 s1, s0, 1
	s_cmp_ge_u32 s2, s66
	s_cselect_b32 s2, s1, s0
.LBB23_5:
	v_mov_b32_e32 v10, 0
	v_mov_b32_e32 v1, v10
	;; [unrolled: 1-line block ×3, first 2 shown]
	v_mad_u64_u32 v[12:13], s[0:1], s8, v4, v[0:1]
	s_add_u32 s0, s2, 1
	s_addc_u32 s1, s3, 0
	s_mul_hi_u32 s2, s7, s8
	s_mul_i32 s1, s33, s1
	s_mul_hi_u32 s3, s33, s0
	s_add_i32 s1, s3, s1
	s_mul_i32 s2, s2, s0
	s_add_i32 s1, s1, s2
	s_mul_i32 s0, s33, s0
	s_lshl_b64 s[26:27], s[0:1], 1
	v_cmp_gt_i64_e32 vcc, s[26:27], v[12:13]
	s_and_saveexec_b64 s[0:1], vcc
	s_cbranch_execz .LBB23_50
; %bb.6:
	s_mov_b32 s0, 0x5384540f
	v_mov_b32_e32 v0, v9
	v_add_co_u32_e32 v36, vcc, s0, v8
	s_mov_b32 s0, 0x646e171e
	v_add_co_u32_e32 v37, vcc, s0, v0
	s_mov_b32 s0, 0x1715609d
	;; [unrolled: 2-line block ×6, first 2 shown]
	v_alignbit_b32 v43, v3, v2, 2
	s_mov_b32 s68, 0xd2511f53
	v_add_co_u32_e32 v42, vcc, s0, v8
	v_mad_u64_u32 v[4:5], s[0:1], v43, s68, 0
	v_xor_b32_e32 v1, v5, v9
	v_xor_b32_e32 v1, v1, v13
	s_mov_b32 s69, 0xcd9e8d57
	v_mad_u64_u32 v[6:7], s[0:1], v1, s69, 0
	v_xor_b32_e32 v1, v42, v7
	v_mad_u64_u32 v[14:15], s[0:1], v12, s69, 0
	v_and_b32_e32 v32, 3, v2
	v_xor_b32_e32 v1, v1, v14
	v_xor_b32_e32 v2, v8, v15
	v_lshrrev_b32_e32 v44, 2, v3
	v_mad_u64_u32 v[16:17], s[0:1], v1, s68, 0
	v_xor_b32_e32 v2, v2, v44
	v_xor_b32_e32 v1, v41, v17
	v_mad_u64_u32 v[2:3], s[0:1], v2, s68, 0
	v_xor_b32_e32 v1, v1, v2
	v_mad_u64_u32 v[14:15], s[0:1], v1, s69, 0
	s_mov_b32 s0, 0xbb67ae85
	v_add_co_u32_e32 v45, vcc, s0, v0
	v_xor_b32_e32 v2, v45, v3
	v_xor_b32_e32 v2, v2, v4
	v_xor_b32_e32 v1, v40, v15
	v_mad_u64_u32 v[2:3], s[0:1], v2, s69, 0
	v_xor_b32_e32 v1, v1, v2
	v_mad_u64_u32 v[4:5], s[0:1], v1, s68, 0
	s_mov_b32 s0, 0x3c6ef372
	v_add_co_u32_e32 v46, vcc, s0, v8
	v_xor_b32_e32 v2, v46, v3
	;; [unrolled: 8-line block ×6, first 2 shown]
	v_add_co_u32_e32 v35, vcc, 0xdb3d7428, v0
	v_xor_b32_e32 v2, v2, v6
	v_xor_b32_e32 v1, v35, v5
	v_mad_u64_u32 v[2:3], s[0:1], v2, s68, 0
	v_xor_b32_e32 v1, v1, v2
	v_mad_u64_u32 v[6:7], s[0:1], v1, s69, 0
	s_mov_b32 s0, 0x1fd5c5a3
	v_add_co_u32_e32 v51, vcc, s0, v0
	v_xor_b32_e32 v0, v51, v3
	v_xor_b32_e32 v0, v0, v16
	v_mad_u64_u32 v[0:1], s[0:1], v0, s69, 0
	s_mov_b32 s0, 0xf1bbcdc8
	s_load_dwordx2 s[46:47], s[4:5], 0xf4
	s_load_dwordx4 s[28:31], s[4:5], 0x138
	v_add_co_u32_e32 v52, vcc, s0, v8
	v_xor_b32_e32 v1, v52, v1
	v_xor_b32_e32 v1, v1, v14
	v_mad_u64_u32 v[14:15], s[0:1], v1, s68, 0
	v_add_u32_e32 v34, 0x96a522ad, v9
	v_xor_b32_e32 v1, v15, v4
	s_waitcnt lgkmcnt(0)
	v_add_f64 v[4:5], -s[30:31], 1.0
	v_xor_b32_e32 v0, v7, v0
	v_xor_b32_e32 v2, v34, v1
	v_mov_b32_e32 v1, v6
	v_add_f64 v[6:7], v[4:5], -1.0
	v_mov_b32_e32 v3, v14
	v_add_f64 v[14:15], v[6:7], -v[4:5]
	v_add_f64 v[14:15], v[14:15], 1.0
	v_add_f64 v[6:7], -s[30:31], -v[6:7]
	s_mov_b32 s50, 0x55555555
	v_add_f64 v[6:7], v[6:7], v[14:15]
	v_frexp_mant_f64_e32 v[14:15], v[4:5]
	s_mov_b32 s51, 0x3fe55555
	v_frexp_exp_i32_f64_e32 v11, v[4:5]
	v_cmp_gt_f64_e32 vcc, s[50:51], v[14:15]
	v_subbrev_co_u32_e32 v11, vcc, 0, v11, vcc
	v_sub_u32_e32 v14, 0, v11
	v_ldexp_f64 v[4:5], v[4:5], v14
	v_ldexp_f64 v[6:7], v[6:7], v14
	v_add_f64 v[14:15], v[4:5], -1.0
	v_add_f64 v[20:21], v[4:5], 1.0
	v_add_f64 v[16:17], v[14:15], 1.0
	v_add_f64 v[22:23], v[20:21], -1.0
	v_add_f64 v[16:17], v[4:5], -v[16:17]
	v_add_f64 v[4:5], v[4:5], -v[22:23]
	v_add_f64 v[4:5], v[6:7], v[4:5]
	v_add_f64 v[16:17], v[6:7], v[16:17]
	;; [unrolled: 1-line block ×3, first 2 shown]
	v_rcp_f64_e32 v[22:23], v[6:7]
	v_add_f64 v[18:19], v[14:15], v[16:17]
	v_add_f64 v[14:15], v[18:19], -v[14:15]
	v_add_f64 v[14:15], v[16:17], -v[14:15]
	;; [unrolled: 1-line block ×4, first 2 shown]
	v_fma_f64 v[16:17], -v[6:7], v[22:23], 1.0
	v_fmac_f64_e32 v[22:23], v[16:17], v[22:23]
	v_fma_f64 v[16:17], -v[6:7], v[22:23], 1.0
	v_fmac_f64_e32 v[22:23], v[16:17], v[22:23]
	v_mul_f64 v[16:17], v[18:19], v[22:23]
	v_mul_f64 v[20:21], v[6:7], v[16:17]
	v_fma_f64 v[24:25], v[16:17], v[6:7], -v[20:21]
	v_fmac_f64_e32 v[24:25], v[16:17], v[4:5]
	v_add_f64 v[26:27], v[20:21], v[24:25]
	v_add_f64 v[28:29], v[18:19], -v[26:27]
	v_add_f64 v[18:19], v[18:19], -v[28:29]
	;; [unrolled: 1-line block ×4, first 2 shown]
	v_add_f64 v[14:15], v[14:15], v[18:19]
	v_add_f64 v[18:19], v[20:21], -v[24:25]
	v_add_f64 v[14:15], v[18:19], v[14:15]
	v_add_f64 v[18:19], v[28:29], v[14:15]
	v_add_f64 v[20:21], v[28:29], -v[18:19]
	v_add_f64 v[14:15], v[14:15], v[20:21]
	v_mul_f64 v[20:21], v[22:23], v[18:19]
	v_mul_f64 v[24:25], v[6:7], v[20:21]
	v_fma_f64 v[6:7], v[20:21], v[6:7], -v[24:25]
	v_fmac_f64_e32 v[6:7], v[20:21], v[4:5]
	v_add_f64 v[4:5], v[24:25], v[6:7]
	v_add_f64 v[26:27], v[18:19], -v[4:5]
	v_add_f64 v[18:19], v[18:19], -v[26:27]
	;; [unrolled: 1-line block ×4, first 2 shown]
	v_add_f64 v[4:5], v[14:15], v[4:5]
	v_add_f64 v[6:7], v[24:25], -v[6:7]
	v_add_f64 v[4:5], v[6:7], v[4:5]
	v_add_f64 v[6:7], v[16:17], v[20:21]
	;; [unrolled: 1-line block ×3, first 2 shown]
	v_add_f64 v[14:15], v[6:7], -v[16:17]
	v_mul_f64 v[4:5], v[22:23], v[4:5]
	v_add_f64 v[14:15], v[20:21], -v[14:15]
	v_add_f64 v[4:5], v[14:15], v[4:5]
	v_add_f64 v[26:27], v[6:7], v[4:5]
	v_add_f64 v[6:7], v[26:27], -v[6:7]
	v_mov_b32_e32 v14, 0x6b47b09a
	v_mov_b32_e32 v15, 0x3fc38538
	s_mov_b32 s52, 0xbf559e2b
	v_add_f64 v[4:5], v[4:5], -v[6:7]
	v_mul_f64 v[6:7], v[26:27], v[26:27]
	s_mov_b32 s53, 0x3fc3ab76
	v_pk_mov_b32 v[18:19], v[14:15], v[14:15] op_sel:[0,1]
	v_mov_b32_e32 v16, 0xd7f4df2e
	v_mov_b32_e32 v17, 0x3fc7474d
	v_fmac_f64_e32 v[18:19], s[52:53], v[6:7]
	v_pk_mov_b32 v[20:21], v[16:17], v[16:17] op_sel:[0,1]
	v_fmac_f64_e32 v[20:21], v[6:7], v[18:19]
	v_mov_b32_e32 v18, 0x16291751
	v_mov_b32_e32 v19, 0x3fcc71c0
	v_pk_mov_b32 v[22:23], v[18:19], v[18:19] op_sel:[0,1]
	v_fmac_f64_e32 v[22:23], v[6:7], v[20:21]
	v_mov_b32_e32 v20, 0x9b27acf1
	v_mov_b32_e32 v21, 0x3fd24924
	;; [unrolled: 4-line block ×4, first 2 shown]
	v_pk_mov_b32 v[30:31], v[24:25], v[24:25] op_sel:[0,1]
	s_mov_b32 s54, 0xfefa39ef
	v_fmac_f64_e32 v[30:31], v[6:7], v[28:29]
	v_cvt_f64_i32_e32 v[28:29], v11
	s_mov_b32 s55, 0x3fe62e42
	v_mul_f64 v[54:55], v[28:29], s[54:55]
	s_mov_b32 s56, 0x3b39803f
	v_fma_f64 v[56:57], v[28:29], s[54:55], -v[54:55]
	s_mov_b32 s57, 0x3c7abc9e
	v_fmac_f64_e32 v[56:57], s[56:57], v[28:29]
	v_add_f64 v[28:29], v[54:55], v[56:57]
	v_add_f64 v[54:55], v[28:29], -v[54:55]
	v_mul_f64 v[6:7], v[26:27], v[6:7]
	v_add_f64 v[54:55], v[56:57], -v[54:55]
	v_ldexp_f64 v[56:57], v[26:27], 1
	v_mul_f64 v[6:7], v[6:7], v[30:31]
	v_add_f64 v[26:27], v[56:57], v[6:7]
	v_add_f64 v[30:31], v[26:27], -v[56:57]
	v_ldexp_f64 v[4:5], v[4:5], 1
	v_add_f64 v[6:7], v[6:7], -v[30:31]
	v_add_f64 v[4:5], v[4:5], v[6:7]
	v_add_f64 v[6:7], v[26:27], v[4:5]
	s_load_dwordx8 s[8:15], s[4:5], 0x30
	v_add_f64 v[26:27], v[6:7], -v[26:27]
	v_add_f64 v[4:5], v[4:5], -v[26:27]
	v_add_f64 v[26:27], v[28:29], v[6:7]
	v_add_f64 v[30:31], v[26:27], -v[28:29]
	v_add_f64 v[56:57], v[26:27], -v[30:31]
	s_add_u32 s34, s4, 48
	v_add_f64 v[28:29], v[28:29], -v[56:57]
	v_add_f64 v[6:7], v[6:7], -v[30:31]
	s_addc_u32 s35, s5, 0
	s_waitcnt lgkmcnt(0)
	s_add_i32 s0, s8, -1
	v_add_f64 v[6:7], v[6:7], v[28:29]
	v_add_f64 v[28:29], v[54:55], v[4:5]
	s_cmp_gt_u32 s0, 1
	v_add_f64 v[30:31], v[28:29], -v[54:55]
	v_add_f64 v[6:7], v[28:29], v[6:7]
	s_cselect_b64 s[40:41], -1, 0
	s_cmp_lg_u32 s8, 0
	v_add_f64 v[56:57], v[28:29], -v[30:31]
	v_add_f64 v[28:29], v[26:27], v[6:7]
	s_cselect_b64 s[42:43], -1, 0
	s_add_u32 s44, s4, 0xf4
	v_add_f64 v[54:55], v[54:55], -v[56:57]
	v_add_f64 v[4:5], v[4:5], -v[30:31]
	;; [unrolled: 1-line block ×3, first 2 shown]
	s_addc_u32 s45, s5, 0
	s_min_u32 s1, s0, 15
	v_add_f64 v[4:5], v[4:5], v[54:55]
	v_add_f64 v[6:7], v[6:7], -v[26:27]
	s_cmp_gt_u32 s8, 1
	v_add_f64 v[4:5], v[4:5], v[6:7]
	v_mov_b32_e32 v6, 0
	s_cselect_b64 s[48:49], -1, 0
	s_xor_b32 s2, s31, 0x80000000
	v_mov_b32_e32 v7, 0xfff00000
	v_add_f64 v[4:5], v[28:29], v[4:5]
	v_mov_b32_e32 v11, s30
	v_cmp_eq_f64_e32 vcc, s[30:31], v[6:7]
	v_mov_b32_e32 v6, s2
	s_add_i32 s1, s1, 1
	s_mov_b32 s8, s13
	v_cndmask_b32_e32 v4, v4, v11, vcc
	v_cndmask_b32_e32 v5, v5, v6, vcc
	v_mov_b32_e32 v6, 0x7ff80000
	v_cmp_ngt_f64_e64 vcc, s[30:31], 1.0
	s_and_b32 s13, s1, 3
	v_cndmask_b32_e32 v5, v6, v5, vcc
	v_cmp_nge_f64_e64 vcc, s[30:31], 1.0
	s_cmp_lg_u32 s0, 2
	v_cndmask_b32_e32 v26, 0, v4, vcc
	v_cmp_neq_f64_e64 vcc, s[30:31], 1.0
	s_cselect_b64 s[30:31], -1, 0
	s_and_b32 s15, s1, 28
	v_add_u32_e32 v33, 0x8ff34781, v8
	v_mov_b32_e32 v53, 0xfff00000
	s_cmp_lg_u32 s13, 0
	s_mov_b32 s67, 0
	v_xor_b32_e32 v0, v33, v0
	v_cndmask_b32_e32 v27, v53, v5, vcc
	s_mov_b64 s[58:59], 0
	s_cselect_b64 s[60:61], -1, 0
	s_mov_b32 s70, 0x7f800000
	v_mov_b32_e32 v54, 0x3ff00000
	v_mov_b32_e32 v55, v12
	;; [unrolled: 1-line block ×3, first 2 shown]
	s_branch .LBB23_9
.LBB23_7:                               ;   in Loop: Header=BB23_9 Depth=1
	v_cvt_f32_u32_e32 v0, v1
	v_mov_b32_e32 v3, 0x2f800000
	v_fmac_f32_e32 v3, 0x2f800000, v0
	v_cvt_f64_f32_e32 v[0:1], v3
	v_frexp_mant_f64_e32 v[30:31], v[0:1]
	v_cmp_gt_f64_e32 vcc, s[50:51], v[30:31]
	v_cndmask_b32_e64 v11, v54, 2.0, vcc
	v_mul_f64 v[30:31], v[30:31], v[10:11]
	v_add_f64 v[58:59], v[30:31], 1.0
	v_rcp_f64_e32 v[60:61], v[58:59]
	v_add_f64 v[64:65], v[58:59], -1.0
	v_add_f64 v[62:63], v[30:31], -1.0
	v_add_f64 v[30:31], v[30:31], -v[64:65]
	v_fma_f64 v[64:65], -v[58:59], v[60:61], 1.0
	v_fmac_f64_e32 v[60:61], v[64:65], v[60:61]
	v_fma_f64 v[64:65], -v[58:59], v[60:61], 1.0
	v_fmac_f64_e32 v[60:61], v[64:65], v[60:61]
	v_mul_f64 v[64:65], v[62:63], v[60:61]
	v_mul_f64 v[66:67], v[58:59], v[64:65]
	v_fma_f64 v[58:59], v[64:65], v[58:59], -v[66:67]
	v_fmac_f64_e32 v[58:59], v[64:65], v[30:31]
	v_add_f64 v[30:31], v[66:67], v[58:59]
	v_add_f64 v[68:69], v[62:63], -v[30:31]
	v_add_f64 v[66:67], v[30:31], -v[66:67]
	;; [unrolled: 1-line block ×5, first 2 shown]
	v_add_f64 v[30:31], v[58:59], v[30:31]
	v_add_f64 v[30:31], v[68:69], v[30:31]
	v_mul_f64 v[30:31], v[60:61], v[30:31]
	v_add_f64 v[58:59], v[64:65], v[30:31]
	v_add_f64 v[60:61], v[58:59], -v[64:65]
	v_add_f64 v[30:31], v[30:31], -v[60:61]
	v_mul_f64 v[60:61], v[58:59], v[58:59]
	v_pk_mov_b32 v[62:63], v[14:15], v[14:15] op_sel:[0,1]
	v_fmac_f64_e32 v[62:63], s[52:53], v[60:61]
	v_pk_mov_b32 v[64:65], v[16:17], v[16:17] op_sel:[0,1]
	v_fmac_f64_e32 v[64:65], v[60:61], v[62:63]
	;; [unrolled: 2-line block ×6, first 2 shown]
	v_ldexp_f64 v[62:63], v[58:59], 1
	v_mul_f64 v[58:59], v[58:59], v[60:61]
	v_mul_f64 v[58:59], v[58:59], v[64:65]
	v_add_f64 v[60:61], v[62:63], v[58:59]
	v_add_f64 v[62:63], v[60:61], -v[62:63]
	v_ldexp_f64 v[30:31], v[30:31], 1
	v_add_f64 v[58:59], v[58:59], -v[62:63]
	v_add_f64 v[30:31], v[30:31], v[58:59]
	v_frexp_exp_i32_f64_e32 v7, v[0:1]
	v_add_f64 v[58:59], v[60:61], v[30:31]
	v_subbrev_co_u32_e32 v7, vcc, 0, v7, vcc
	v_add_f64 v[60:61], v[58:59], -v[60:61]
	v_add_f64 v[30:31], v[30:31], -v[60:61]
	v_cvt_f64_i32_e32 v[60:61], v7
	v_mul_f64 v[62:63], v[60:61], s[54:55]
	v_fma_f64 v[64:65], v[60:61], s[54:55], -v[62:63]
	v_fmac_f64_e32 v[64:65], s[56:57], v[60:61]
	v_add_f64 v[60:61], v[62:63], v[64:65]
	v_add_f64 v[62:63], v[60:61], -v[62:63]
	v_add_f64 v[62:63], v[64:65], -v[62:63]
	v_add_f64 v[64:65], v[60:61], v[58:59]
	v_add_f64 v[66:67], v[64:65], -v[60:61]
	v_add_f64 v[68:69], v[64:65], -v[66:67]
	;; [unrolled: 1-line block ×4, first 2 shown]
	v_add_f64 v[58:59], v[58:59], v[60:61]
	v_add_f64 v[60:61], v[62:63], v[30:31]
	v_add_f64 v[66:67], v[60:61], -v[62:63]
	v_add_f64 v[68:69], v[60:61], -v[66:67]
	v_add_f64 v[58:59], v[60:61], v[58:59]
	v_add_f64 v[62:63], v[62:63], -v[68:69]
	v_add_f64 v[30:31], v[30:31], -v[66:67]
	v_add_f64 v[60:61], v[64:65], v[58:59]
	v_add_f64 v[30:31], v[30:31], v[62:63]
	v_add_f64 v[62:63], v[60:61], -v[64:65]
	v_add_f64 v[58:59], v[58:59], -v[62:63]
	v_add_f64 v[30:31], v[30:31], v[58:59]
	v_add_f64 v[30:31], v[60:61], v[30:31]
	v_cmp_eq_f32_e32 vcc, s70, v3
	v_cndmask_b32_e32 v0, v30, v0, vcc
	v_cndmask_b32_e32 v1, v31, v1, vcc
	v_cmp_neq_f32_e32 vcc, 0, v3
	v_cndmask_b32_e32 v1, v53, v1, vcc
	v_cndmask_b32_e32 v0, 0, v0, vcc
	v_div_scale_f64 v[30:31], s[0:1], v[26:27], v[26:27], v[0:1]
	v_rcp_f64_e32 v[58:59], v[30:31]
	v_fma_f64 v[60:61], -v[30:31], v[58:59], 1.0
	v_fmac_f64_e32 v[58:59], v[58:59], v[60:61]
	v_fma_f64 v[60:61], -v[30:31], v[58:59], 1.0
	v_fmac_f64_e32 v[58:59], v[58:59], v[60:61]
	v_div_scale_f64 v[60:61], vcc, v[0:1], v[26:27], v[0:1]
	v_mul_f64 v[62:63], v[60:61], v[58:59]
	v_fma_f64 v[30:31], -v[30:31], v[62:63], v[60:61]
	s_nop 1
	v_div_fmas_f64 v[30:31], v[30:31], v[58:59], v[62:63]
	v_div_fixup_f64 v[0:1], v[30:31], v[26:27], v[0:1]
	v_ceil_f64_e32 v[0:1], v[0:1]
	global_store_dwordx2 v2, v[0:1], s[28:29]
.LBB23_8:                               ;   in Loop: Header=BB23_9 Depth=1
	s_or_b64 exec, exec, s[36:37]
	v_add_co_u32_e32 v12, vcc, s66, v12
	v_addc_co_u32_e32 v13, vcc, 0, v13, vcc
	v_mov_b32_e32 v7, v28
	v_cmp_le_i64_e32 vcc, s[26:27], v[12:13]
	v_pk_mov_b32 v[0:1], v[4:5], v[4:5] op_sel:[0,1]
	s_or_b64 s[58:59], vcc, s[58:59]
	v_pk_mov_b32 v[2:3], v[6:7], v[6:7] op_sel:[0,1]
	s_barrier
	s_andn2_b64 exec, exec, s[58:59]
	s_cbranch_execz .LBB23_50
.LBB23_9:                               ; =>This Loop Header: Depth=1
                                        ;     Child Loop BB23_24 Depth 2
                                        ;     Child Loop BB23_30 Depth 2
	;; [unrolled: 1-line block ×4, first 2 shown]
	v_add_co_u32_e32 v43, vcc, 1, v43
	v_cndmask_b32_e64 v4, 0, 1, vcc
	v_addc_co_u32_e32 v44, vcc, 0, v44, vcc
	v_cmp_eq_u32_e32 vcc, 0, v44
	v_cndmask_b32_e32 v4, 0, v4, vcc
	v_add_u32_e32 v55, v4, v55
	v_cmp_eq_u32_e32 vcc, 0, v55
	v_cndmask_b32_e32 v4, 0, v4, vcc
	v_add_u32_e32 v56, v4, v56
	v_mad_u64_u32 v[4:5], s[0:1], v43, s68, 0
	v_mad_u64_u32 v[6:7], s[0:1], v55, s69, 0
	v_xor_b32_e32 v5, v5, v9
	v_xor_b32_e32 v7, v7, v8
	v_xor_b32_e32 v5, v56, v5
	v_xor_b32_e32 v7, v44, v7
	v_mad_u64_u32 v[30:31], s[0:1], v5, s69, 0
	v_mad_u64_u32 v[28:29], s[0:1], v7, s68, 0
	v_xor_b32_e32 v5, v42, v31
	v_xor_b32_e32 v5, v5, v6
	v_xor_b32_e32 v6, v45, v29
	v_xor_b32_e32 v6, v6, v4
	;; [unrolled: 6-line block ×10, first 2 shown]
	v_mov_b32_e32 v5, v30
	v_cmp_lt_i32_e32 vcc, 1, v32
	s_and_saveexec_b64 s[0:1], vcc
	s_xor_b64 s[0:1], exec, s[0:1]
	s_cbranch_execz .LBB23_15
; %bb.10:                               ;   in Loop: Header=BB23_9 Depth=1
	v_cmp_lt_i32_e32 vcc, 2, v32
	s_and_saveexec_b64 s[2:3], vcc
	s_xor_b64 s[2:3], exec, s[2:3]
; %bb.11:                               ;   in Loop: Header=BB23_9 Depth=1
	v_mov_b32_e32 v0, v3
	v_mov_b32_e32 v1, v4
; %bb.12:                               ;   in Loop: Header=BB23_9 Depth=1
	s_andn2_saveexec_b64 s[2:3], s[2:3]
; %bb.13:                               ;   in Loop: Header=BB23_9 Depth=1
	v_mov_b32_e32 v0, v2
	v_mov_b32_e32 v1, v3
; %bb.14:                               ;   in Loop: Header=BB23_9 Depth=1
	s_or_b64 exec, exec, s[2:3]
.LBB23_15:                              ;   in Loop: Header=BB23_9 Depth=1
	s_andn2_saveexec_b64 s[0:1], s[0:1]
	s_cbranch_execz .LBB23_19
; %bb.16:                               ;   in Loop: Header=BB23_9 Depth=1
	v_cmp_eq_u32_e32 vcc, 1, v32
	s_and_saveexec_b64 s[2:3], vcc
; %bb.17:                               ;   in Loop: Header=BB23_9 Depth=1
	v_mov_b32_e32 v0, v1
	v_mov_b32_e32 v1, v2
; %bb.18:                               ;   in Loop: Header=BB23_9 Depth=1
	s_or_b64 exec, exec, s[2:3]
.LBB23_19:                              ;   in Loop: Header=BB23_9 Depth=1
	s_or_b64 exec, exec, s[0:1]
	v_cndmask_b32_e64 v2, 0, 1, s[40:41]
	v_cmp_gt_i64_e32 vcc, s[24:25], v[12:13]
	v_cmp_ne_u32_e64 s[0:1], 1, v2
	s_and_saveexec_b64 s[2:3], vcc
	s_cbranch_execz .LBB23_35
; %bb.20:                               ;   in Loop: Header=BB23_9 Depth=1
	s_and_b64 vcc, exec, s[0:1]
	s_cbranch_vccnz .LBB23_26
; %bb.21:                               ;   in Loop: Header=BB23_9 Depth=1
	s_andn2_b64 vcc, exec, s[42:43]
	s_cbranch_vccnz .LBB23_27
; %bb.22:                               ;   in Loop: Header=BB23_9 Depth=1
	s_mov_b32 s6, 0
	s_andn2_b64 vcc, exec, s[30:31]
	v_mov_b32_e32 v2, 0
	s_cbranch_vccnz .LBB23_28
; %bb.23:                               ;   in Loop: Header=BB23_9 Depth=1
	s_mov_b32 s71, 0
	v_mov_b32_e32 v2, 0
	s_mov_b64 s[62:63], s[34:35]
	s_mov_b64 s[64:65], s[44:45]
	v_mov_b32_e32 v7, v12
.LBB23_24:                              ;   Parent Loop BB23_9 Depth=1
                                        ; =>  This Inner Loop Header: Depth=2
	s_load_dwordx8 s[16:23], s[62:63], 0x4
	s_load_dwordx4 s[4:7], s[62:63], 0x24
	s_load_dwordx4 s[36:39], s[64:65], 0x0
	s_add_u32 s62, s62, 48
	s_addc_u32 s63, s63, 0
	s_waitcnt lgkmcnt(0)
	v_mul_hi_u32 v3, s17, v7
	v_add_u32_e32 v3, v7, v3
	v_lshrrev_b32_e32 v3, s18, v3
	v_mul_lo_u32 v11, v3, s16
	v_mul_hi_u32 v29, s20, v3
	v_sub_u32_e32 v7, v7, v11
	v_add_u32_e32 v11, v3, v29
	v_lshrrev_b32_e32 v11, s21, v11
	v_mul_lo_u32 v29, v11, s19
	v_mul_hi_u32 v30, s23, v11
	v_sub_u32_e32 v3, v3, v29
	v_add_u32_e32 v29, v11, v30
	v_mul_lo_u32 v7, v7, s36
	v_mul_lo_u32 v3, v3, s37
	v_lshrrev_b32_e32 v29, s4, v29
	v_add3_u32 v2, v7, v2, v3
	v_mul_hi_u32 v7, s6, v29
	v_add_u32_e32 v7, v29, v7
	v_mul_lo_u32 v3, v29, s22
	v_lshrrev_b32_e32 v7, s7, v7
	s_add_i32 s71, s71, 4
	v_sub_u32_e32 v3, v11, v3
	v_mul_lo_u32 v11, v7, s5
	s_add_u32 s64, s64, 16
	v_sub_u32_e32 v11, v29, v11
	s_addc_u32 s65, s65, 0
	v_mul_lo_u32 v3, v3, s38
	v_mul_lo_u32 v11, v11, s39
	s_cmp_lg_u32 s15, s71
	v_add3_u32 v2, v3, v2, v11
	s_cbranch_scc1 .LBB23_24
; %bb.25:                               ;   in Loop: Header=BB23_9 Depth=1
	s_mov_b32 s6, s15
	s_andn2_b64 vcc, exec, s[60:61]
	s_cbranch_vccz .LBB23_29
	s_branch .LBB23_31
.LBB23_26:                              ;   in Loop: Header=BB23_9 Depth=1
                                        ; implicit-def: $vgpr2
	s_branch .LBB23_32
.LBB23_27:                              ;   in Loop: Header=BB23_9 Depth=1
	v_mov_b32_e32 v2, 0
	s_branch .LBB23_31
.LBB23_28:                              ;   in Loop: Header=BB23_9 Depth=1
	v_mov_b32_e32 v7, v12
	s_andn2_b64 vcc, exec, s[60:61]
	s_cbranch_vccnz .LBB23_31
.LBB23_29:                              ;   in Loop: Header=BB23_9 Depth=1
	s_lshl_b32 s4, s6, 2
	s_add_u32 s4, s44, s4
	s_addc_u32 s5, s45, 0
	s_mul_i32 s6, s6, 12
	s_add_u32 s6, s34, s6
	s_addc_u32 s7, s35, 0
	s_mov_b32 s16, s13
.LBB23_30:                              ;   Parent Loop BB23_9 Depth=1
                                        ; =>  This Inner Loop Header: Depth=2
	s_load_dwordx2 s[18:19], s[6:7], 0x4
	s_load_dword s17, s[6:7], 0xc
	s_load_dword s20, s[4:5], 0x0
	s_add_u32 s6, s6, 12
	s_addc_u32 s7, s7, 0
	s_waitcnt lgkmcnt(0)
	v_mul_hi_u32 v3, s19, v7
	v_add_u32_e32 v3, v7, v3
	v_lshrrev_b32_e32 v3, s17, v3
	s_add_u32 s4, s4, 4
	v_mul_lo_u32 v11, v3, s18
	s_addc_u32 s5, s5, 0
	s_add_i32 s16, s16, -1
	v_sub_u32_e32 v11, v7, v11
	s_cmp_lg_u32 s16, 0
	v_mov_b32_e32 v7, v3
	v_mad_u64_u32 v[2:3], s[18:19], v11, s20, v[2:3]
	s_cbranch_scc1 .LBB23_30
.LBB23_31:                              ;   in Loop: Header=BB23_9 Depth=1
	s_cbranch_execnz .LBB23_34
.LBB23_32:                              ;   in Loop: Header=BB23_9 Depth=1
	v_mul_hi_u32 v2, v12, s10
	v_add_u32_e32 v2, v2, v12
	v_lshrrev_b32_e32 v3, s11, v2
	v_mul_lo_u32 v2, v3, s9
	v_sub_u32_e32 v2, v12, v2
	s_andn2_b64 vcc, exec, s[48:49]
	v_mul_lo_u32 v2, v2, s46
	s_cbranch_vccnz .LBB23_34
; %bb.33:                               ;   in Loop: Header=BB23_9 Depth=1
	v_mul_hi_u32 v7, s8, v3
	v_add_u32_e32 v7, v3, v7
	v_lshrrev_b32_e32 v7, s14, v7
	v_mul_lo_u32 v7, v7, s12
	v_sub_u32_e32 v3, v3, v7
	v_mad_u64_u32 v[2:3], s[4:5], v3, s47, v[2:3]
.LBB23_34:                              ;   in Loop: Header=BB23_9 Depth=1
	v_cvt_f32_u32_e32 v0, v0
	v_mov_b32_e32 v3, 0x2f800000
	v_fmac_f32_e32 v3, 0x2f800000, v0
	v_cvt_f64_f32_e32 v[30:31], v3
	v_frexp_mant_f64_e32 v[58:59], v[30:31]
	v_cmp_gt_f64_e32 vcc, s[50:51], v[58:59]
	v_cndmask_b32_e64 v11, v54, 2.0, vcc
	v_mul_f64 v[58:59], v[58:59], v[10:11]
	v_add_f64 v[60:61], v[58:59], 1.0
	v_rcp_f64_e32 v[62:63], v[60:61]
	v_add_f64 v[66:67], v[60:61], -1.0
	v_add_f64 v[64:65], v[58:59], -1.0
	v_add_f64 v[58:59], v[58:59], -v[66:67]
	v_fma_f64 v[66:67], -v[60:61], v[62:63], 1.0
	v_fmac_f64_e32 v[62:63], v[66:67], v[62:63]
	v_fma_f64 v[66:67], -v[60:61], v[62:63], 1.0
	v_fmac_f64_e32 v[62:63], v[66:67], v[62:63]
	v_mul_f64 v[66:67], v[64:65], v[62:63]
	v_mul_f64 v[68:69], v[60:61], v[66:67]
	v_fma_f64 v[60:61], v[66:67], v[60:61], -v[68:69]
	v_fmac_f64_e32 v[60:61], v[66:67], v[58:59]
	v_add_f64 v[58:59], v[68:69], v[60:61]
	v_add_f64 v[70:71], v[64:65], -v[58:59]
	v_add_f64 v[68:69], v[58:59], -v[68:69]
	;; [unrolled: 1-line block ×5, first 2 shown]
	v_add_f64 v[58:59], v[60:61], v[58:59]
	v_add_f64 v[58:59], v[70:71], v[58:59]
	v_mul_f64 v[58:59], v[62:63], v[58:59]
	v_add_f64 v[60:61], v[66:67], v[58:59]
	v_add_f64 v[62:63], v[60:61], -v[66:67]
	v_add_f64 v[58:59], v[58:59], -v[62:63]
	v_mul_f64 v[62:63], v[60:61], v[60:61]
	v_pk_mov_b32 v[64:65], v[14:15], v[14:15] op_sel:[0,1]
	v_fmac_f64_e32 v[64:65], s[52:53], v[62:63]
	v_pk_mov_b32 v[66:67], v[16:17], v[16:17] op_sel:[0,1]
	v_fmac_f64_e32 v[66:67], v[62:63], v[64:65]
	;; [unrolled: 2-line block ×6, first 2 shown]
	v_ldexp_f64 v[64:65], v[60:61], 1
	v_mul_f64 v[60:61], v[60:61], v[62:63]
	v_mul_f64 v[60:61], v[60:61], v[66:67]
	v_add_f64 v[62:63], v[64:65], v[60:61]
	v_add_f64 v[64:65], v[62:63], -v[64:65]
	v_ldexp_f64 v[58:59], v[58:59], 1
	v_add_f64 v[60:61], v[60:61], -v[64:65]
	v_add_f64 v[58:59], v[58:59], v[60:61]
	v_frexp_exp_i32_f64_e32 v0, v[30:31]
	v_add_f64 v[60:61], v[62:63], v[58:59]
	v_subbrev_co_u32_e32 v0, vcc, 0, v0, vcc
	v_add_f64 v[62:63], v[60:61], -v[62:63]
	v_add_f64 v[58:59], v[58:59], -v[62:63]
	v_cvt_f64_i32_e32 v[62:63], v0
	v_mul_f64 v[64:65], v[62:63], s[54:55]
	v_fma_f64 v[66:67], v[62:63], s[54:55], -v[64:65]
	v_fmac_f64_e32 v[66:67], s[56:57], v[62:63]
	v_add_f64 v[62:63], v[64:65], v[66:67]
	v_add_f64 v[64:65], v[62:63], -v[64:65]
	v_add_f64 v[64:65], v[66:67], -v[64:65]
	v_add_f64 v[66:67], v[62:63], v[60:61]
	v_add_f64 v[68:69], v[66:67], -v[62:63]
	v_add_f64 v[70:71], v[66:67], -v[68:69]
	;; [unrolled: 1-line block ×4, first 2 shown]
	v_add_f64 v[60:61], v[60:61], v[62:63]
	v_add_f64 v[62:63], v[64:65], v[58:59]
	v_add_f64 v[68:69], v[62:63], -v[64:65]
	v_add_f64 v[70:71], v[62:63], -v[68:69]
	v_add_f64 v[60:61], v[62:63], v[60:61]
	v_add_f64 v[64:65], v[64:65], -v[70:71]
	v_add_f64 v[58:59], v[58:59], -v[68:69]
	v_add_f64 v[62:63], v[66:67], v[60:61]
	v_add_f64 v[58:59], v[58:59], v[64:65]
	v_add_f64 v[64:65], v[62:63], -v[66:67]
	v_add_f64 v[60:61], v[60:61], -v[64:65]
	v_add_f64 v[58:59], v[58:59], v[60:61]
	v_add_f64 v[58:59], v[62:63], v[58:59]
	v_cmp_eq_f32_e32 vcc, s70, v3
	v_cndmask_b32_e32 v0, v58, v30, vcc
	v_cndmask_b32_e32 v7, v59, v31, vcc
	v_cmp_neq_f32_e32 vcc, 0, v3
	v_cndmask_b32_e32 v31, v53, v7, vcc
	v_cndmask_b32_e32 v30, 0, v0, vcc
	v_div_scale_f64 v[58:59], s[4:5], v[26:27], v[26:27], v[30:31]
	v_rcp_f64_e32 v[60:61], v[58:59]
	v_fma_f64 v[62:63], -v[58:59], v[60:61], 1.0
	v_fmac_f64_e32 v[60:61], v[60:61], v[62:63]
	v_fma_f64 v[62:63], -v[58:59], v[60:61], 1.0
	v_fmac_f64_e32 v[60:61], v[60:61], v[62:63]
	v_div_scale_f64 v[62:63], vcc, v[30:31], v[26:27], v[30:31]
	v_mul_f64 v[64:65], v[62:63], v[60:61]
	v_fma_f64 v[58:59], -v[58:59], v[64:65], v[62:63]
	s_nop 1
	v_div_fmas_f64 v[58:59], v[58:59], v[60:61], v[64:65]
	v_div_fixup_f64 v[30:31], v[58:59], v[26:27], v[30:31]
	v_ceil_f64_e32 v[30:31], v[30:31]
	global_store_dwordx2 v2, v[30:31], s[28:29]
.LBB23_35:                              ;   in Loop: Header=BB23_9 Depth=1
	s_or_b64 exec, exec, s[2:3]
	v_mov_b32_e32 v0, s67
	v_add_co_u32_e32 v30, vcc, s33, v12
	v_addc_co_u32_e32 v31, vcc, v13, v0, vcc
	v_cmp_gt_i64_e32 vcc, s[24:25], v[30:31]
	s_and_saveexec_b64 s[36:37], vcc
	s_cbranch_execz .LBB23_8
; %bb.36:                               ;   in Loop: Header=BB23_9 Depth=1
	s_and_b64 vcc, exec, s[0:1]
	s_cbranch_vccnz .LBB23_42
; %bb.37:                               ;   in Loop: Header=BB23_9 Depth=1
	s_andn2_b64 vcc, exec, s[42:43]
	s_cbranch_vccnz .LBB23_43
; %bb.38:                               ;   in Loop: Header=BB23_9 Depth=1
	s_mov_b32 s2, 0
	s_andn2_b64 vcc, exec, s[30:31]
	v_mov_b32_e32 v2, 0
	s_cbranch_vccnz .LBB23_44
; %bb.39:                               ;   in Loop: Header=BB23_9 Depth=1
	s_mov_b32 s64, 0
	v_mov_b32_e32 v2, 0
	s_mov_b64 s[38:39], s[34:35]
	s_mov_b64 s[62:63], s[44:45]
	v_mov_b32_e32 v0, v30
.LBB23_40:                              ;   Parent Loop BB23_9 Depth=1
                                        ; =>  This Inner Loop Header: Depth=2
	s_load_dwordx8 s[0:7], s[38:39], 0x4
	s_load_dwordx4 s[16:19], s[38:39], 0x24
	s_load_dwordx4 s[20:23], s[62:63], 0x0
	s_add_u32 s38, s38, 48
	s_addc_u32 s39, s39, 0
	s_waitcnt lgkmcnt(0)
	v_mul_hi_u32 v3, s1, v0
	v_add_u32_e32 v3, v0, v3
	v_lshrrev_b32_e32 v3, s2, v3
	v_mul_lo_u32 v7, v3, s0
	v_mul_hi_u32 v11, s4, v3
	v_sub_u32_e32 v0, v0, v7
	v_add_u32_e32 v7, v3, v11
	v_lshrrev_b32_e32 v7, s5, v7
	v_mul_lo_u32 v11, v7, s3
	v_mul_hi_u32 v29, s7, v7
	v_sub_u32_e32 v3, v3, v11
	v_add_u32_e32 v11, v7, v29
	v_mul_lo_u32 v0, v0, s20
	v_mul_lo_u32 v3, v3, s21
	v_lshrrev_b32_e32 v11, s16, v11
	v_add3_u32 v2, v0, v2, v3
	v_mul_lo_u32 v0, v11, s6
	v_mul_hi_u32 v3, s18, v11
	v_sub_u32_e32 v0, v7, v0
	v_add_u32_e32 v3, v11, v3
	v_mul_lo_u32 v7, v0, s22
	v_lshrrev_b32_e32 v0, s19, v3
	s_add_i32 s64, s64, 4
	v_mul_lo_u32 v3, v0, s17
	s_add_u32 s62, s62, 16
	v_sub_u32_e32 v3, v11, v3
	s_addc_u32 s63, s63, 0
	v_mul_lo_u32 v3, v3, s23
	s_cmp_eq_u32 s15, s64
	v_add3_u32 v2, v7, v2, v3
	s_cbranch_scc0 .LBB23_40
; %bb.41:                               ;   in Loop: Header=BB23_9 Depth=1
	s_mov_b32 s2, s15
	s_andn2_b64 vcc, exec, s[60:61]
	s_cbranch_vccz .LBB23_45
	s_branch .LBB23_47
.LBB23_42:                              ;   in Loop: Header=BB23_9 Depth=1
                                        ; implicit-def: $vgpr2
	s_branch .LBB23_48
.LBB23_43:                              ;   in Loop: Header=BB23_9 Depth=1
	v_mov_b32_e32 v2, 0
	s_branch .LBB23_47
.LBB23_44:                              ;   in Loop: Header=BB23_9 Depth=1
	v_mov_b32_e32 v0, v30
	s_andn2_b64 vcc, exec, s[60:61]
	s_cbranch_vccnz .LBB23_47
.LBB23_45:                              ;   in Loop: Header=BB23_9 Depth=1
	s_lshl_b32 s0, s2, 2
	s_add_u32 s0, s44, s0
	s_addc_u32 s1, s45, 0
	s_mul_i32 s2, s2, 12
	s_add_u32 s2, s34, s2
	s_addc_u32 s3, s35, 0
	s_mov_b32 s4, s13
.LBB23_46:                              ;   Parent Loop BB23_9 Depth=1
                                        ; =>  This Inner Loop Header: Depth=2
	s_load_dwordx2 s[6:7], s[2:3], 0x4
	s_load_dword s5, s[2:3], 0xc
	s_load_dword s16, s[0:1], 0x0
	s_add_u32 s2, s2, 12
	s_addc_u32 s3, s3, 0
	s_waitcnt lgkmcnt(0)
	v_mul_hi_u32 v3, s7, v0
	v_add_u32_e32 v3, v0, v3
	v_lshrrev_b32_e32 v3, s5, v3
	s_add_u32 s0, s0, 4
	v_mul_lo_u32 v7, v3, s6
	s_addc_u32 s1, s1, 0
	s_add_i32 s4, s4, -1
	v_sub_u32_e32 v7, v0, v7
	s_cmp_lg_u32 s4, 0
	v_mov_b32_e32 v0, v3
	v_mad_u64_u32 v[2:3], s[6:7], v7, s16, v[2:3]
	s_cbranch_scc1 .LBB23_46
.LBB23_47:                              ;   in Loop: Header=BB23_9 Depth=1
	s_cbranch_execnz .LBB23_7
.LBB23_48:                              ;   in Loop: Header=BB23_9 Depth=1
	v_mul_hi_u32 v0, v30, s10
	v_add_u32_e32 v0, v0, v30
	v_lshrrev_b32_e32 v0, s11, v0
	v_mul_lo_u32 v2, v0, s9
	v_sub_u32_e32 v2, v30, v2
	s_andn2_b64 vcc, exec, s[48:49]
	v_mul_lo_u32 v2, v2, s46
	s_cbranch_vccnz .LBB23_7
; %bb.49:                               ;   in Loop: Header=BB23_9 Depth=1
	v_mul_hi_u32 v3, s8, v0
	v_add_u32_e32 v3, v0, v3
	v_lshrrev_b32_e32 v3, s14, v3
	v_mul_lo_u32 v3, v3, s12
	v_sub_u32_e32 v0, v0, v3
	v_mad_u64_u32 v[2:3], s[0:1], v0, s47, v[2:3]
	s_branch .LBB23_7
.LBB23_50:
	s_endpgm
.LBB23_51:
                                        ; implicit-def: $sgpr2_sgpr3
	s_andn2_b64 vcc, exec, s[0:1]
	s_cbranch_vccz .LBB23_4
	s_branch .LBB23_5
	.section	.rodata,"a",@progbits
	.p2align	6, 0x0
	.amdhsa_kernel _ZN2at6native12_GLOBAL__N_143distribution_elementwise_grid_stride_kernelIdLi2EZNS0_9templates4cuda21uniform_and_transformIddPNS_17CUDAGeneratorImplEZZZNS4_16geometric_kernelIS7_EEvRNS_18TensorIteratorBaseEdT_ENKUlvE_clEvENKUlvE4_clEvEUldE_EEvSA_T1_T2_EUlP25hiprandStatePhilox4_32_10E0_ZNS1_27distribution_nullary_kernelIdd15HIP_vector_typeIfLj4EES7_SJ_SE_EEvSA_SG_RKT3_T4_EUlidE0_EEvlNS_15PhiloxCudaStateESF_SG_
		.amdhsa_group_segment_fixed_size 0
		.amdhsa_private_segment_fixed_size 0
		.amdhsa_kernarg_size 584
		.amdhsa_user_sgpr_count 6
		.amdhsa_user_sgpr_private_segment_buffer 1
		.amdhsa_user_sgpr_dispatch_ptr 0
		.amdhsa_user_sgpr_queue_ptr 0
		.amdhsa_user_sgpr_kernarg_segment_ptr 1
		.amdhsa_user_sgpr_dispatch_id 0
		.amdhsa_user_sgpr_flat_scratch_init 0
		.amdhsa_user_sgpr_kernarg_preload_length 0
		.amdhsa_user_sgpr_kernarg_preload_offset 0
		.amdhsa_user_sgpr_private_segment_size 0
		.amdhsa_uses_dynamic_stack 0
		.amdhsa_system_sgpr_private_segment_wavefront_offset 0
		.amdhsa_system_sgpr_workgroup_id_x 1
		.amdhsa_system_sgpr_workgroup_id_y 0
		.amdhsa_system_sgpr_workgroup_id_z 0
		.amdhsa_system_sgpr_workgroup_info 0
		.amdhsa_system_vgpr_workitem_id 0
		.amdhsa_next_free_vgpr 72
		.amdhsa_next_free_sgpr 72
		.amdhsa_accum_offset 72
		.amdhsa_reserve_vcc 1
		.amdhsa_reserve_flat_scratch 0
		.amdhsa_float_round_mode_32 0
		.amdhsa_float_round_mode_16_64 0
		.amdhsa_float_denorm_mode_32 3
		.amdhsa_float_denorm_mode_16_64 3
		.amdhsa_dx10_clamp 1
		.amdhsa_ieee_mode 1
		.amdhsa_fp16_overflow 0
		.amdhsa_tg_split 0
		.amdhsa_exception_fp_ieee_invalid_op 0
		.amdhsa_exception_fp_denorm_src 0
		.amdhsa_exception_fp_ieee_div_zero 0
		.amdhsa_exception_fp_ieee_overflow 0
		.amdhsa_exception_fp_ieee_underflow 0
		.amdhsa_exception_fp_ieee_inexact 0
		.amdhsa_exception_int_div_zero 0
	.end_amdhsa_kernel
	.section	.text._ZN2at6native12_GLOBAL__N_143distribution_elementwise_grid_stride_kernelIdLi2EZNS0_9templates4cuda21uniform_and_transformIddPNS_17CUDAGeneratorImplEZZZNS4_16geometric_kernelIS7_EEvRNS_18TensorIteratorBaseEdT_ENKUlvE_clEvENKUlvE4_clEvEUldE_EEvSA_T1_T2_EUlP25hiprandStatePhilox4_32_10E0_ZNS1_27distribution_nullary_kernelIdd15HIP_vector_typeIfLj4EES7_SJ_SE_EEvSA_SG_RKT3_T4_EUlidE0_EEvlNS_15PhiloxCudaStateESF_SG_,"axG",@progbits,_ZN2at6native12_GLOBAL__N_143distribution_elementwise_grid_stride_kernelIdLi2EZNS0_9templates4cuda21uniform_and_transformIddPNS_17CUDAGeneratorImplEZZZNS4_16geometric_kernelIS7_EEvRNS_18TensorIteratorBaseEdT_ENKUlvE_clEvENKUlvE4_clEvEUldE_EEvSA_T1_T2_EUlP25hiprandStatePhilox4_32_10E0_ZNS1_27distribution_nullary_kernelIdd15HIP_vector_typeIfLj4EES7_SJ_SE_EEvSA_SG_RKT3_T4_EUlidE0_EEvlNS_15PhiloxCudaStateESF_SG_,comdat
.Lfunc_end23:
	.size	_ZN2at6native12_GLOBAL__N_143distribution_elementwise_grid_stride_kernelIdLi2EZNS0_9templates4cuda21uniform_and_transformIddPNS_17CUDAGeneratorImplEZZZNS4_16geometric_kernelIS7_EEvRNS_18TensorIteratorBaseEdT_ENKUlvE_clEvENKUlvE4_clEvEUldE_EEvSA_T1_T2_EUlP25hiprandStatePhilox4_32_10E0_ZNS1_27distribution_nullary_kernelIdd15HIP_vector_typeIfLj4EES7_SJ_SE_EEvSA_SG_RKT3_T4_EUlidE0_EEvlNS_15PhiloxCudaStateESF_SG_, .Lfunc_end23-_ZN2at6native12_GLOBAL__N_143distribution_elementwise_grid_stride_kernelIdLi2EZNS0_9templates4cuda21uniform_and_transformIddPNS_17CUDAGeneratorImplEZZZNS4_16geometric_kernelIS7_EEvRNS_18TensorIteratorBaseEdT_ENKUlvE_clEvENKUlvE4_clEvEUldE_EEvSA_T1_T2_EUlP25hiprandStatePhilox4_32_10E0_ZNS1_27distribution_nullary_kernelIdd15HIP_vector_typeIfLj4EES7_SJ_SE_EEvSA_SG_RKT3_T4_EUlidE0_EEvlNS_15PhiloxCudaStateESF_SG_
                                        ; -- End function
	.section	.AMDGPU.csdata,"",@progbits
; Kernel info:
; codeLenInByte = 5696
; NumSgprs: 76
; NumVgprs: 72
; NumAgprs: 0
; TotalNumVgprs: 72
; ScratchSize: 0
; MemoryBound: 0
; FloatMode: 240
; IeeeMode: 1
; LDSByteSize: 0 bytes/workgroup (compile time only)
; SGPRBlocks: 9
; VGPRBlocks: 8
; NumSGPRsForWavesPerEU: 76
; NumVGPRsForWavesPerEU: 72
; AccumOffset: 72
; Occupancy: 7
; WaveLimiterHint : 1
; COMPUTE_PGM_RSRC2:SCRATCH_EN: 0
; COMPUTE_PGM_RSRC2:USER_SGPR: 6
; COMPUTE_PGM_RSRC2:TRAP_HANDLER: 0
; COMPUTE_PGM_RSRC2:TGID_X_EN: 1
; COMPUTE_PGM_RSRC2:TGID_Y_EN: 0
; COMPUTE_PGM_RSRC2:TGID_Z_EN: 0
; COMPUTE_PGM_RSRC2:TIDIG_COMP_CNT: 0
; COMPUTE_PGM_RSRC3_GFX90A:ACCUM_OFFSET: 17
; COMPUTE_PGM_RSRC3_GFX90A:TG_SPLIT: 0
	.section	.text._ZN2at6native12_GLOBAL__N_143distribution_elementwise_grid_stride_kernelIfLi4EZNS0_9templates4cuda21uniform_and_transformIffPNS_17CUDAGeneratorImplEZZZNS4_16geometric_kernelIS7_EEvRNS_18TensorIteratorBaseEdT_ENKUlvE_clEvENKUlvE5_clEvEUlfE_EEvSA_T1_T2_EUlP25hiprandStatePhilox4_32_10E_ZNS1_27distribution_nullary_kernelIff15HIP_vector_typeIdLj2EES7_SJ_SE_EEvSA_SG_RKT3_T4_EUlifE_EEvlNS_15PhiloxCudaStateESF_SG_,"axG",@progbits,_ZN2at6native12_GLOBAL__N_143distribution_elementwise_grid_stride_kernelIfLi4EZNS0_9templates4cuda21uniform_and_transformIffPNS_17CUDAGeneratorImplEZZZNS4_16geometric_kernelIS7_EEvRNS_18TensorIteratorBaseEdT_ENKUlvE_clEvENKUlvE5_clEvEUlfE_EEvSA_T1_T2_EUlP25hiprandStatePhilox4_32_10E_ZNS1_27distribution_nullary_kernelIff15HIP_vector_typeIdLj2EES7_SJ_SE_EEvSA_SG_RKT3_T4_EUlifE_EEvlNS_15PhiloxCudaStateESF_SG_,comdat
	.globl	_ZN2at6native12_GLOBAL__N_143distribution_elementwise_grid_stride_kernelIfLi4EZNS0_9templates4cuda21uniform_and_transformIffPNS_17CUDAGeneratorImplEZZZNS4_16geometric_kernelIS7_EEvRNS_18TensorIteratorBaseEdT_ENKUlvE_clEvENKUlvE5_clEvEUlfE_EEvSA_T1_T2_EUlP25hiprandStatePhilox4_32_10E_ZNS1_27distribution_nullary_kernelIff15HIP_vector_typeIdLj2EES7_SJ_SE_EEvSA_SG_RKT3_T4_EUlifE_EEvlNS_15PhiloxCudaStateESF_SG_ ; -- Begin function _ZN2at6native12_GLOBAL__N_143distribution_elementwise_grid_stride_kernelIfLi4EZNS0_9templates4cuda21uniform_and_transformIffPNS_17CUDAGeneratorImplEZZZNS4_16geometric_kernelIS7_EEvRNS_18TensorIteratorBaseEdT_ENKUlvE_clEvENKUlvE5_clEvEUlfE_EEvSA_T1_T2_EUlP25hiprandStatePhilox4_32_10E_ZNS1_27distribution_nullary_kernelIff15HIP_vector_typeIdLj2EES7_SJ_SE_EEvSA_SG_RKT3_T4_EUlifE_EEvlNS_15PhiloxCudaStateESF_SG_
	.p2align	8
	.type	_ZN2at6native12_GLOBAL__N_143distribution_elementwise_grid_stride_kernelIfLi4EZNS0_9templates4cuda21uniform_and_transformIffPNS_17CUDAGeneratorImplEZZZNS4_16geometric_kernelIS7_EEvRNS_18TensorIteratorBaseEdT_ENKUlvE_clEvENKUlvE5_clEvEUlfE_EEvSA_T1_T2_EUlP25hiprandStatePhilox4_32_10E_ZNS1_27distribution_nullary_kernelIff15HIP_vector_typeIdLj2EES7_SJ_SE_EEvSA_SG_RKT3_T4_EUlifE_EEvlNS_15PhiloxCudaStateESF_SG_,@function
_ZN2at6native12_GLOBAL__N_143distribution_elementwise_grid_stride_kernelIfLi4EZNS0_9templates4cuda21uniform_and_transformIffPNS_17CUDAGeneratorImplEZZZNS4_16geometric_kernelIS7_EEvRNS_18TensorIteratorBaseEdT_ENKUlvE_clEvENKUlvE5_clEvEUlfE_EEvSA_T1_T2_EUlP25hiprandStatePhilox4_32_10E_ZNS1_27distribution_nullary_kernelIff15HIP_vector_typeIdLj2EES7_SJ_SE_EEvSA_SG_RKT3_T4_EUlifE_EEvlNS_15PhiloxCudaStateESF_SG_: ; @_ZN2at6native12_GLOBAL__N_143distribution_elementwise_grid_stride_kernelIfLi4EZNS0_9templates4cuda21uniform_and_transformIffPNS_17CUDAGeneratorImplEZZZNS4_16geometric_kernelIS7_EEvRNS_18TensorIteratorBaseEdT_ENKUlvE_clEvENKUlvE5_clEvEUlfE_EEvSA_T1_T2_EUlP25hiprandStatePhilox4_32_10E_ZNS1_27distribution_nullary_kernelIff15HIP_vector_typeIdLj2EES7_SJ_SE_EEvSA_SG_RKT3_T4_EUlifE_EEvlNS_15PhiloxCudaStateESF_SG_
; %bb.0:
	s_load_dword s2, s[4:5], 0x20
	s_load_dwordx2 s[0:1], s[4:5], 0x10
	s_load_dwordx4 s[8:11], s[4:5], 0x0
	s_waitcnt lgkmcnt(0)
	s_bitcmp0_b32 s2, 0
	s_mov_b32 s2, 0
	v_pk_mov_b32 v[2:3], s[0:1], s[0:1] op_sel:[0,1]
	v_pk_mov_b32 v[14:15], s[10:11], s[10:11] op_sel:[0,1]
	s_cbranch_scc1 .LBB24_2
; %bb.1:
	v_pk_mov_b32 v[2:3], s[0:1], s[0:1] op_sel:[0,1]
	flat_load_dwordx2 v[2:3], v[2:3]
	v_pk_mov_b32 v[4:5], s[10:11], s[10:11] op_sel:[0,1]
	flat_load_dwordx2 v[14:15], v[4:5]
	s_load_dwordx2 s[0:1], s[4:5], 0x18
	s_waitcnt lgkmcnt(0)
	v_mov_b32_e32 v1, s1
	s_waitcnt vmcnt(0)
	v_add_co_u32_e32 v2, vcc, s0, v2
	v_addc_co_u32_e32 v3, vcc, v3, v1, vcc
.LBB24_2:
	s_load_dword s0, s[4:5], 0x54
	s_load_dword s17, s[4:5], 0x48
	s_waitcnt lgkmcnt(0)
	s_and_b32 s7, s0, 0xffff
	s_add_u32 s10, s8, -1
	s_mul_i32 s12, s17, s7
	s_addc_u32 s3, s9, -1
	s_lshl_b32 s13, s12, 2
	s_cmp_lg_u64 s[2:3], 0
	s_mov_b64 s[0:1], -1
	s_cbranch_scc0 .LBB24_27
; %bb.3:
	v_cvt_f32_u32_e32 v1, s13
	v_cvt_f32_ubyte0_e32 v4, 0
	s_sub_u32 s2, 0, s13
	s_subb_u32 s11, 0, 0
	v_madmk_f32 v1, v4, 0x4f800000, v1
	v_rcp_f32_e32 v1, v1
	v_mul_f32_e32 v1, 0x5f7ffffc, v1
	v_mul_f32_e32 v4, 0x2f800000, v1
	v_trunc_f32_e32 v4, v4
	v_madmk_f32 v1, v4, 0xcf800000, v1
	v_cvt_u32_f32_e32 v4, v4
	v_cvt_u32_f32_e32 v1, v1
	v_readfirstlane_b32 s14, v4
	v_readfirstlane_b32 s15, v1
	s_mul_i32 s16, s2, s14
	s_mul_hi_u32 s19, s2, s15
	s_mul_i32 s18, s11, s15
	s_add_i32 s16, s19, s16
	s_add_i32 s16, s16, s18
	s_mul_i32 s20, s2, s15
	s_mul_hi_u32 s18, s15, s16
	s_mul_i32 s19, s15, s16
	s_mul_hi_u32 s15, s15, s20
	s_add_u32 s15, s15, s19
	s_addc_u32 s18, 0, s18
	s_mul_hi_u32 s21, s14, s20
	s_mul_i32 s20, s14, s20
	s_add_u32 s15, s15, s20
	s_mul_hi_u32 s19, s14, s16
	s_addc_u32 s15, s18, s21
	s_addc_u32 s18, s19, 0
	s_mul_i32 s16, s14, s16
	s_add_u32 s15, s15, s16
	s_addc_u32 s16, 0, s18
	v_add_co_u32_e32 v1, vcc, s15, v1
	s_cmp_lg_u64 vcc, 0
	s_addc_u32 s14, s14, s16
	v_readfirstlane_b32 s16, v1
	s_mul_i32 s15, s2, s14
	s_mul_hi_u32 s18, s2, s16
	s_add_i32 s15, s18, s15
	s_mul_i32 s11, s11, s16
	s_add_i32 s15, s15, s11
	s_mul_i32 s2, s2, s16
	s_mul_hi_u32 s18, s14, s2
	s_mul_i32 s19, s14, s2
	s_mul_i32 s21, s16, s15
	s_mul_hi_u32 s2, s16, s2
	s_mul_hi_u32 s20, s16, s15
	s_add_u32 s2, s2, s21
	s_addc_u32 s16, 0, s20
	s_add_u32 s2, s2, s19
	s_mul_hi_u32 s11, s14, s15
	s_addc_u32 s2, s16, s18
	s_addc_u32 s11, s11, 0
	s_mul_i32 s15, s14, s15
	s_add_u32 s2, s2, s15
	s_addc_u32 s11, 0, s11
	v_add_co_u32_e32 v1, vcc, s2, v1
	s_cmp_lg_u64 vcc, 0
	s_addc_u32 s11, s14, s11
	s_ashr_i32 s14, s3, 31
	s_add_u32 s2, s10, s14
	s_mov_b32 s15, s14
	s_addc_u32 s3, s3, s14
	s_xor_b64 s[2:3], s[2:3], s[14:15]
	v_readfirstlane_b32 s19, v1
	s_mul_i32 s18, s2, s11
	s_mul_hi_u32 s20, s2, s19
	s_mul_hi_u32 s16, s2, s11
	s_add_u32 s18, s20, s18
	s_addc_u32 s16, 0, s16
	s_mul_hi_u32 s21, s3, s19
	s_mul_i32 s19, s3, s19
	s_add_u32 s18, s18, s19
	s_mul_hi_u32 s20, s3, s11
	s_addc_u32 s16, s16, s21
	s_addc_u32 s18, s20, 0
	s_mul_i32 s11, s3, s11
	s_add_u32 s11, s16, s11
	s_addc_u32 s16, 0, s18
	s_add_u32 s18, s11, 1
	s_addc_u32 s19, s16, 0
	s_add_u32 s20, s11, 2
	s_mul_i32 s22, s13, s16
	s_mul_hi_u32 s23, s13, s11
	s_addc_u32 s21, s16, 0
	s_add_i32 s23, s23, s22
	s_mul_i32 s22, s13, s11
	v_mov_b32_e32 v1, s22
	v_sub_co_u32_e32 v1, vcc, s2, v1
	s_cmp_lg_u64 vcc, 0
	s_subb_u32 s2, s3, s23
	v_subrev_co_u32_e32 v4, vcc, s13, v1
	s_cmp_lg_u64 vcc, 0
	s_subb_u32 s3, s2, 0
	v_readfirstlane_b32 s22, v4
	s_cmp_ge_u32 s22, s13
	s_cselect_b32 s22, -1, 0
	s_cmp_eq_u32 s3, 0
	s_cselect_b32 s3, s22, -1
	s_cmp_lg_u32 s3, 0
	s_cselect_b32 s3, s21, s19
	v_readfirstlane_b32 s19, v1
	s_cselect_b32 s18, s20, s18
	s_cmp_ge_u32 s19, s13
	s_cselect_b32 s19, -1, 0
	s_cmp_eq_u32 s2, 0
	s_cselect_b32 s2, s19, -1
	s_cmp_lg_u32 s2, 0
	s_cselect_b32 s3, s3, s16
	s_cselect_b32 s2, s18, s11
	s_xor_b64 s[2:3], s[2:3], s[14:15]
	s_sub_u32 s2, s2, s14
	s_subb_u32 s3, s3, s14
	s_cbranch_execnz .LBB24_5
.LBB24_4:
	v_cvt_f32_u32_e32 v1, s13
	s_sub_i32 s0, 0, s13
	s_mov_b32 s3, 0
	v_rcp_iflag_f32_e32 v1, v1
	v_mul_f32_e32 v1, 0x4f7ffffe, v1
	v_cvt_u32_f32_e32 v1, v1
	v_readfirstlane_b32 s1, v1
	s_mul_i32 s0, s0, s1
	s_mul_hi_u32 s0, s1, s0
	s_add_i32 s1, s1, s0
	s_mul_hi_u32 s0, s10, s1
	s_mul_i32 s2, s0, s13
	s_sub_i32 s2, s10, s2
	s_add_i32 s1, s0, 1
	s_sub_i32 s10, s2, s13
	s_cmp_ge_u32 s2, s13
	s_cselect_b32 s0, s1, s0
	s_cselect_b32 s2, s10, s2
	s_add_i32 s1, s0, 1
	s_cmp_ge_u32 s2, s13
	s_cselect_b32 s2, s1, s0
.LBB24_5:
	v_mov_b32_e32 v1, 0
	v_mov_b32_e32 v4, s6
	v_mad_u64_u32 v[16:17], s[0:1], s7, v4, v[0:1]
	s_add_u32 s0, s2, 1
	s_addc_u32 s1, s3, 0
	s_mul_hi_u32 s2, s17, s7
	s_mul_i32 s1, s12, s1
	s_mul_hi_u32 s3, s12, s0
	s_add_i32 s1, s3, s1
	s_mul_i32 s2, s2, s0
	s_add_i32 s1, s1, s2
	s_mul_i32 s0, s12, s0
	s_lshl_b64 s[2:3], s[0:1], 2
	v_cmp_gt_i64_e32 vcc, s[2:3], v[16:17]
	s_and_saveexec_b64 s[0:1], vcc
	s_cbranch_execz .LBB24_26
; %bb.6:
	s_load_dwordx2 s[10:11], s[4:5], 0x30
	s_load_dword s25, s[4:5], 0x38
	s_load_dwordx2 s[0:1], s[4:5], 0x40
	s_mov_b32 s4, 0x5384540f
	v_mov_b32_e32 v4, v15
	v_add_co_u32_e32 v22, vcc, s4, v14
	s_mov_b32 s4, 0x646e171e
	v_add_co_u32_e32 v23, vcc, s4, v4
	s_mov_b32 s4, 0x1715609d
	;; [unrolled: 2-line block ×6, first 2 shown]
	v_alignbit_b32 v29, v3, v2, 2
	s_mov_b32 s15, 0xd2511f53
	v_add_co_u32_e32 v28, vcc, s4, v14
	v_mad_u64_u32 v[6:7], s[4:5], v29, s15, 0
	v_xor_b32_e32 v1, v7, v15
	v_xor_b32_e32 v1, v1, v17
	s_mov_b32 s16, 0xcd9e8d57
	v_mad_u64_u32 v[8:9], s[4:5], v1, s16, 0
	v_xor_b32_e32 v1, v28, v9
	v_mad_u64_u32 v[10:11], s[4:5], v16, s16, 0
	v_and_b32_e32 v18, 3, v2
	v_xor_b32_e32 v1, v1, v10
	v_xor_b32_e32 v2, v14, v11
	v_lshrrev_b32_e32 v30, 2, v3
	v_mad_u64_u32 v[12:13], s[4:5], v1, s15, 0
	v_xor_b32_e32 v2, v2, v30
	v_xor_b32_e32 v1, v27, v13
	v_mad_u64_u32 v[2:3], s[4:5], v2, s15, 0
	v_xor_b32_e32 v1, v1, v2
	v_mad_u64_u32 v[10:11], s[4:5], v1, s16, 0
	s_mov_b32 s4, 0xbb67ae85
	v_add_co_u32_e32 v31, vcc, s4, v4
	v_xor_b32_e32 v2, v31, v3
	v_xor_b32_e32 v2, v2, v6
	v_xor_b32_e32 v1, v26, v11
	v_mad_u64_u32 v[2:3], s[4:5], v2, s16, 0
	v_xor_b32_e32 v1, v1, v2
	v_mad_u64_u32 v[6:7], s[4:5], v1, s15, 0
	s_mov_b32 s4, 0x3c6ef372
	v_add_co_u32_e32 v32, vcc, s4, v14
	v_xor_b32_e32 v2, v32, v3
	;; [unrolled: 8-line block ×6, first 2 shown]
	v_add_co_u32_e32 v21, vcc, 0xdb3d7428, v4
	v_xor_b32_e32 v2, v2, v8
	v_xor_b32_e32 v1, v21, v41
	v_mad_u64_u32 v[2:3], s[4:5], v2, s15, 0
	v_xor_b32_e32 v1, v1, v2
	v_mad_u64_u32 v[8:9], s[4:5], v1, s16, 0
	s_mov_b32 s4, 0x1fd5c5a3
	v_add_co_u32_e32 v37, vcc, s4, v4
	v_xor_b32_e32 v1, v37, v3
	v_xor_b32_e32 v1, v1, v12
	v_mad_u64_u32 v[2:3], s[4:5], v1, s16, 0
	s_mov_b32 s4, 0xf1bbcdc8
	v_add_u32_e32 v19, 0x8ff34781, v14
	v_xor_b32_e32 v1, v9, v2
	v_add_co_u32_e32 v38, vcc, s4, v14
	v_xor_b32_e32 v2, v19, v1
	v_xor_b32_e32 v1, v38, v3
	;; [unrolled: 1-line block ×3, first 2 shown]
	v_mad_u64_u32 v[6:7], s[4:5], v1, s15, 0
	v_add_u32_e32 v20, 0x96a522ad, v15
	v_xor_b32_e32 v1, v7, v40
	v_xor_b32_e32 v4, v20, v1
	s_waitcnt lgkmcnt(0)
	v_cvt_f32_f64_e32 v1, s[0:1]
	v_sub_f32_e32 v5, 1.0, v1
	v_add_f32_e32 v7, -1.0, v5
	v_mov_b32_e32 v3, v8
	v_sub_f32_e32 v8, v7, v5
	v_add_f32_e32 v8, 1.0, v8
	v_sub_f32_e64 v7, -v1, v7
	v_add_f32_e32 v7, v7, v8
	v_frexp_mant_f32_e32 v10, v5
	s_mov_b32 s0, 0x3f2aaaab
	v_cvt_f64_f32_e32 v[8:9], v5
	v_frexp_exp_i32_f64_e32 v8, v[8:9]
	v_cmp_gt_f32_e32 vcc, s0, v10
	v_subbrev_co_u32_e32 v8, vcc, 0, v8, vcc
	v_sub_u32_e32 v9, 0, v8
	v_ldexp_f32 v5, v5, v9
	v_ldexp_f32 v7, v7, v9
	v_add_f32_e32 v9, -1.0, v5
	v_add_f32_e32 v12, 1.0, v5
	v_add_f32_e32 v10, 1.0, v9
	v_add_f32_e32 v13, -1.0, v12
	v_sub_f32_e32 v10, v5, v10
	v_sub_f32_e32 v5, v5, v13
	v_add_f32_e32 v5, v7, v5
	v_add_f32_e32 v10, v7, v10
	;; [unrolled: 1-line block ×3, first 2 shown]
	v_rcp_f32_e32 v13, v7
	v_add_f32_e32 v11, v9, v10
	v_sub_f32_e32 v9, v11, v9
	v_sub_f32_e32 v9, v10, v9
	;; [unrolled: 1-line block ×4, first 2 shown]
	v_mul_f32_e32 v10, v11, v13
	v_mul_f32_e32 v12, v7, v10
	v_fma_f32 v39, v10, v7, -v12
	v_fmac_f32_e32 v39, v10, v5
	v_add_f32_e32 v40, v12, v39
	v_sub_f32_e32 v41, v11, v40
	v_sub_f32_e32 v11, v11, v41
	;; [unrolled: 1-line block ×4, first 2 shown]
	v_add_f32_e32 v9, v9, v11
	v_sub_f32_e32 v11, v12, v39
	v_add_f32_e32 v9, v11, v9
	v_add_f32_e32 v11, v41, v9
	v_mul_f32_e32 v12, v13, v11
	v_mul_f32_e32 v39, v7, v12
	v_fma_f32 v7, v12, v7, -v39
	v_fmac_f32_e32 v7, v12, v5
	v_sub_f32_e32 v5, v41, v11
	v_add_f32_e32 v5, v9, v5
	v_add_f32_e32 v9, v39, v7
	v_sub_f32_e32 v40, v11, v9
	v_sub_f32_e32 v11, v11, v40
	;; [unrolled: 1-line block ×4, first 2 shown]
	v_add_f32_e32 v5, v5, v9
	v_sub_f32_e32 v7, v39, v7
	v_add_f32_e32 v5, v7, v5
	v_add_f32_e32 v7, v10, v12
	;; [unrolled: 1-line block ×3, first 2 shown]
	v_sub_f32_e32 v9, v7, v10
	v_mul_f32_e32 v5, v13, v5
	v_sub_f32_e32 v9, v12, v9
	v_add_f32_e32 v5, v9, v5
	v_cvt_f32_i32_e32 v8, v8
	v_add_f32_e32 v9, v7, v5
	v_mul_f32_e32 v10, v9, v9
	v_mov_b32_e32 v11, 0x3ecc95a3
	v_fmac_f32_e32 v11, 0x3e9b6dac, v10
	v_mov_b32_e32 v12, 0x3f2aaada
	v_fmac_f32_e32 v12, v10, v11
	s_mov_b32 s0, 0x3f317218
	v_mul_f32_e32 v11, 0x3f317218, v8
	v_fma_f32 v13, v8, s0, -v11
	v_fmac_f32_e32 v13, 0xb102e308, v8
	v_sub_f32_e32 v7, v9, v7
	v_sub_f32_e32 v5, v5, v7
	v_add_f32_e32 v7, v11, v13
	v_sub_f32_e32 v8, v7, v11
	v_ldexp_f32 v11, v9, 1
	v_mul_f32_e32 v9, v9, v10
	v_mul_f32_e32 v9, v9, v12
	v_add_f32_e32 v10, v11, v9
	v_sub_f32_e32 v11, v10, v11
	v_ldexp_f32 v5, v5, 1
	v_sub_f32_e32 v9, v9, v11
	v_add_f32_e32 v5, v5, v9
	v_add_f32_e32 v9, v10, v5
	v_sub_f32_e32 v10, v9, v10
	v_sub_f32_e32 v5, v5, v10
	v_add_f32_e32 v10, v7, v9
	v_sub_f32_e32 v11, v10, v7
	v_sub_f32_e32 v12, v10, v11
	;; [unrolled: 1-line block ×5, first 2 shown]
	v_add_f32_e32 v7, v9, v7
	v_add_f32_e32 v9, v8, v5
	v_sub_f32_e32 v11, v9, v8
	v_sub_f32_e32 v12, v9, v11
	;; [unrolled: 1-line block ×4, first 2 shown]
	v_add_f32_e32 v7, v9, v7
	v_add_f32_e32 v5, v5, v8
	;; [unrolled: 1-line block ×3, first 2 shown]
	v_sub_f32_e32 v9, v8, v10
	v_sub_f32_e32 v7, v7, v9
	v_add_f32_e32 v5, v5, v7
	s_mov_b32 s0, 0xff800000
	v_add_f32_e32 v5, v8, v5
	v_cmp_eq_f32_e32 vcc, s0, v1
	v_cndmask_b32_e64 v5, v5, -v1, vcc
	v_mov_b32_e32 v7, 0x7fc00000
	v_cmp_nlt_f32_e32 vcc, 1.0, v1
	v_cndmask_b32_e32 v5, v7, v5, vcc
	v_mov_b32_e32 v7, 0xff800000
	v_cmp_neq_f32_e32 vcc, 1.0, v1
	s_mov_b32 s0, 0x33800000
	v_cndmask_b32_e32 v5, v7, v5, vcc
	v_log_f32_e32 v7, s0
	v_cmp_lt_f32_e64 s[0:1], |v1|, s0
	v_cndmask_b32_e64 v39, v5, -v1, s[0:1]
	s_mov_b32 s18, 0x3f317217
	v_mul_f32_e32 v1, 0x3f317217, v7
	v_fma_f32 v5, v7, s18, -v1
	v_fmac_f32_e32 v5, 0x3377d1cf, v7
	s_mov_b32 s19, 0x7f800000
	v_add_f32_e32 v1, v1, v5
	v_cmp_lt_f32_e64 vcc, |v7|, s19
	v_cndmask_b32_e32 v1, v7, v1, vcc
	v_div_scale_f32 v7, s[0:1], v39, v39, v1
	v_rcp_f32_e32 v8, v7
	v_mov_b32_e32 v5, v6
	s_mul_i32 s0, s6, s7
	s_mov_b32 s14, 0
	v_fma_f32 v6, -v7, v8, 1.0
	v_fmac_f32_e32 v8, v6, v8
	v_div_scale_f32 v6, vcc, v1, v39, v1
	v_mul_f32_e32 v9, v6, v8
	v_fma_f32 v10, -v7, v9, v6
	v_fmac_f32_e32 v9, v10, v8
	v_fma_f32 v6, -v7, v9, v6
	v_div_fmas_f32 v6, v6, v8, v9
	v_div_fixup_f32 v1, v6, v39, v1
	v_ceil_f32_e32 v40, v1
	v_add_u32_e32 v1, s0, v0
	s_mul_i32 s0, s17, s25
	s_mul_i32 s0, s0, s7
	s_lshl_b32 s24, s0, 2
	s_mul_i32 s0, s17, 3
	s_add_i32 s0, s6, s0
	s_mul_i32 s0, s0, s7
	v_mul_lo_u32 v41, s25, v1
	v_add_u32_e32 v1, s0, v0
	s_lshl_b32 s0, s17, 1
	s_add_i32 s0, s6, s0
	s_mul_i32 s0, s0, s7
	v_mul_lo_u32 v42, s25, v1
	v_add_u32_e32 v1, s0, v0
	s_add_i32 s0, s6, s17
	s_mul_i32 s0, s0, s7
	v_add_u32_e32 v0, s0, v0
	s_lshl_b32 s20, s12, 1
	s_mov_b32 s21, s14
	s_mul_i32 s22, s12, 3
	s_mov_b32 s23, s14
	v_mul_lo_u32 v43, s25, v1
	v_mul_lo_u32 v44, s25, v0
	s_mov_b64 s[4:5], 0
	s_mov_b32 s17, 0x800000
	v_mov_b32_e32 v45, 0x4f800000
	v_mov_b32_e32 v46, 0x41b17218
	s_mov_b32 s25, s14
	v_mov_b32_e32 v47, v16
	v_mov_b32_e32 v48, v17
	s_branch .LBB24_8
.LBB24_7:                               ;   in Loop: Header=BB24_8 Depth=1
	s_or_b64 exec, exec, s[0:1]
	v_add_co_u32_e32 v16, vcc, s13, v16
	v_addc_co_u32_e32 v17, vcc, 0, v17, vcc
	v_mov_b32_e32 v9, v0
	s_add_i32 s25, s25, s24
	v_cmp_le_i64_e32 vcc, s[2:3], v[16:17]
	v_pk_mov_b32 v[2:3], v[6:7], v[6:7] op_sel:[0,1]
	s_or_b64 s[4:5], vcc, s[4:5]
	v_pk_mov_b32 v[4:5], v[8:9], v[8:9] op_sel:[0,1]
	s_barrier
	s_andn2_b64 exec, exec, s[4:5]
	s_cbranch_execz .LBB24_26
.LBB24_8:                               ; =>This Inner Loop Header: Depth=1
	v_add_co_u32_e32 v29, vcc, 1, v29
	v_cndmask_b32_e64 v0, 0, 1, vcc
	v_addc_co_u32_e32 v30, vcc, 0, v30, vcc
	v_cmp_eq_u32_e32 vcc, 0, v30
	v_cndmask_b32_e32 v0, 0, v0, vcc
	v_add_u32_e32 v47, v0, v47
	v_cmp_eq_u32_e32 vcc, 0, v47
	v_cndmask_b32_e32 v0, 0, v0, vcc
	v_add_u32_e32 v48, v0, v48
	v_mad_u64_u32 v[0:1], s[0:1], v29, s15, 0
	v_mad_u64_u32 v[6:7], s[0:1], v47, s16, 0
	v_xor_b32_e32 v1, v1, v15
	v_xor_b32_e32 v7, v7, v14
	v_xor_b32_e32 v1, v48, v1
	v_xor_b32_e32 v7, v30, v7
	v_mad_u64_u32 v[10:11], s[0:1], v1, s16, 0
	v_mad_u64_u32 v[8:9], s[0:1], v7, s15, 0
	v_xor_b32_e32 v1, v28, v11
	v_xor_b32_e32 v1, v1, v6
	v_xor_b32_e32 v6, v31, v9
	v_xor_b32_e32 v6, v6, v0
	;; [unrolled: 6-line block ×10, first 2 shown]
	v_mov_b32_e32 v7, v12
	v_mov_b32_e32 v8, v13
	v_cmp_lt_i32_e32 vcc, 1, v18
	s_and_saveexec_b64 s[0:1], vcc
	s_xor_b64 s[0:1], exec, s[0:1]
	s_cbranch_execnz .LBB24_18
; %bb.9:                                ;   in Loop: Header=BB24_8 Depth=1
	s_andn2_saveexec_b64 s[0:1], s[0:1]
	s_cbranch_execnz .LBB24_23
.LBB24_10:                              ;   in Loop: Header=BB24_8 Depth=1
	s_or_b64 exec, exec, s[0:1]
	v_cmp_gt_i64_e32 vcc, s[8:9], v[16:17]
	s_and_saveexec_b64 s[6:7], vcc
	s_cbranch_execz .LBB24_12
.LBB24_11:                              ;   in Loop: Header=BB24_8 Depth=1
	v_lshrrev_b32_e32 v1, 11, v3
	v_cvt_f64_u32_e32 v[10:11], v1
	v_ldexp_f64 v[10:11], v[10:11], 32
	v_cvt_f64_u32_e32 v[2:3], v2
	v_add_f64 v[2:3], v[10:11], v[2:3]
	v_mov_b32_e32 v10, 0
	v_mov_b32_e32 v11, 0x3ca00000
	v_fmac_f64_e32 v[10:11], 0x3ca00000, v[2:3]
	v_cvt_f32_f64_e32 v1, v[10:11]
	v_cmp_gt_f32_e32 vcc, s17, v1
	v_cndmask_b32_e32 v2, 1.0, v45, vcc
	v_mul_f32_e32 v1, v1, v2
	v_log_f32_e32 v1, v1
	v_add_u32_e32 v2, s25, v41
	v_ashrrev_i32_e32 v3, 31, v2
	v_mov_b32_e32 v9, s11
	v_mul_f32_e32 v10, 0x3f317217, v1
	v_fma_f32 v11, v1, s18, -v10
	v_fmac_f32_e32 v11, 0x3377d1cf, v1
	v_add_f32_e32 v10, v10, v11
	v_cmp_lt_f32_e64 s[0:1], |v1|, s19
	v_cndmask_b32_e64 v1, v1, v10, s[0:1]
	v_cndmask_b32_e32 v10, 0, v46, vcc
	v_sub_f32_e32 v1, v1, v10
	v_div_scale_f32 v10, s[0:1], v39, v39, v1
	v_rcp_f32_e32 v11, v10
	v_add_co_u32_e32 v2, vcc, s10, v2
	v_addc_co_u32_e32 v3, vcc, v9, v3, vcc
	v_fma_f32 v9, -v10, v11, 1.0
	v_fmac_f32_e32 v11, v9, v11
	v_div_scale_f32 v9, vcc, v1, v39, v1
	v_mul_f32_e32 v12, v9, v11
	v_fma_f32 v13, -v10, v12, v9
	v_fmac_f32_e32 v12, v13, v11
	v_fma_f32 v9, -v10, v12, v9
	v_div_fmas_f32 v9, v9, v11, v12
	v_div_fixup_f32 v1, v9, v39, v1
	v_ceil_f32_e32 v1, v1
	global_store_dword v[2:3], v1, off
.LBB24_12:                              ;   in Loop: Header=BB24_8 Depth=1
	s_or_b64 exec, exec, s[6:7]
	v_mov_b32_e32 v1, s14
	v_add_co_u32_e32 v2, vcc, s12, v16
	v_addc_co_u32_e32 v3, vcc, v1, v17, vcc
	v_cmp_gt_i64_e32 vcc, s[8:9], v[2:3]
	s_and_saveexec_b64 s[6:7], vcc
	s_cbranch_execz .LBB24_14
; %bb.13:                               ;   in Loop: Header=BB24_8 Depth=1
	v_lshrrev_b32_e32 v1, 11, v5
	v_cvt_f64_u32_e32 v[2:3], v1
	v_ldexp_f64 v[2:3], v[2:3], 32
	v_cvt_f64_u32_e32 v[4:5], v4
	v_add_f64 v[2:3], v[2:3], v[4:5]
	v_mov_b32_e32 v4, 0
	v_mov_b32_e32 v5, 0x3ca00000
	v_fmac_f64_e32 v[4:5], 0x3ca00000, v[2:3]
	v_cvt_f32_f64_e32 v1, v[4:5]
	v_cmp_gt_f32_e32 vcc, s17, v1
	v_cndmask_b32_e32 v2, 1.0, v45, vcc
	v_mul_f32_e32 v1, v1, v2
	v_log_f32_e32 v1, v1
	v_add_u32_e32 v2, s25, v44
	v_ashrrev_i32_e32 v3, 31, v2
	v_mov_b32_e32 v4, s11
	v_mul_f32_e32 v5, 0x3f317217, v1
	v_fma_f32 v9, v1, s18, -v5
	v_fmac_f32_e32 v9, 0x3377d1cf, v1
	v_add_f32_e32 v5, v5, v9
	v_cmp_lt_f32_e64 s[0:1], |v1|, s19
	v_cndmask_b32_e64 v1, v1, v5, s[0:1]
	v_cndmask_b32_e32 v5, 0, v46, vcc
	v_sub_f32_e32 v1, v1, v5
	v_div_scale_f32 v5, s[0:1], v39, v39, v1
	v_rcp_f32_e32 v9, v5
	v_add_co_u32_e32 v2, vcc, s10, v2
	v_addc_co_u32_e32 v3, vcc, v4, v3, vcc
	v_fma_f32 v4, -v5, v9, 1.0
	v_fmac_f32_e32 v9, v4, v9
	v_div_scale_f32 v4, vcc, v1, v39, v1
	v_mul_f32_e32 v10, v4, v9
	v_fma_f32 v11, -v5, v10, v4
	v_fmac_f32_e32 v10, v11, v9
	v_fma_f32 v4, -v5, v10, v4
	v_div_fmas_f32 v4, v4, v9, v10
	v_div_fixup_f32 v1, v4, v39, v1
	v_ceil_f32_e32 v1, v1
	global_store_dword v[2:3], v1, off
.LBB24_14:                              ;   in Loop: Header=BB24_8 Depth=1
	s_or_b64 exec, exec, s[6:7]
	v_mov_b32_e32 v1, s21
	v_add_co_u32_e32 v2, vcc, s20, v16
	v_addc_co_u32_e32 v3, vcc, v1, v17, vcc
	v_cmp_gt_i64_e32 vcc, s[8:9], v[2:3]
	s_and_saveexec_b64 s[0:1], vcc
	s_cbranch_execz .LBB24_16
; %bb.15:                               ;   in Loop: Header=BB24_8 Depth=1
	v_add_u32_e32 v1, s25, v43
	v_ashrrev_i32_e32 v3, 31, v1
	v_mov_b32_e32 v4, s11
	v_add_co_u32_e32 v2, vcc, s10, v1
	v_addc_co_u32_e32 v3, vcc, v4, v3, vcc
	global_store_dword v[2:3], v40, off
.LBB24_16:                              ;   in Loop: Header=BB24_8 Depth=1
	s_or_b64 exec, exec, s[0:1]
	v_mov_b32_e32 v1, s23
	v_add_co_u32_e32 v2, vcc, s22, v16
	v_addc_co_u32_e32 v3, vcc, v1, v17, vcc
	v_cmp_gt_i64_e32 vcc, s[8:9], v[2:3]
	s_and_saveexec_b64 s[0:1], vcc
	s_cbranch_execz .LBB24_7
; %bb.17:                               ;   in Loop: Header=BB24_8 Depth=1
	v_add_u32_e32 v1, s25, v42
	v_ashrrev_i32_e32 v3, 31, v1
	v_mov_b32_e32 v4, s11
	v_add_co_u32_e32 v2, vcc, s10, v1
	v_addc_co_u32_e32 v3, vcc, v4, v3, vcc
	global_store_dword v[2:3], v40, off
	s_branch .LBB24_7
.LBB24_18:                              ;   in Loop: Header=BB24_8 Depth=1
	v_cmp_lt_i32_e32 vcc, 2, v18
	s_and_saveexec_b64 s[6:7], vcc
	s_xor_b64 s[6:7], exec, s[6:7]
; %bb.19:                               ;   in Loop: Header=BB24_8 Depth=1
	v_mov_b32_e32 v10, v5
	v_mov_b32_e32 v11, v6
	v_pk_mov_b32 v[2:3], v[10:11], v[10:11] op_sel:[0,1]
	v_pk_mov_b32 v[4:5], v[12:13], v[12:13] op_sel:[0,1]
                                        ; implicit-def: $vgpr12_vgpr13
; %bb.20:                               ;   in Loop: Header=BB24_8 Depth=1
	s_andn2_saveexec_b64 s[6:7], s[6:7]
; %bb.21:                               ;   in Loop: Header=BB24_8 Depth=1
	v_mov_b32_e32 v2, v4
	v_mov_b32_e32 v3, v5
	;; [unrolled: 1-line block ×4, first 2 shown]
; %bb.22:                               ;   in Loop: Header=BB24_8 Depth=1
	s_or_b64 exec, exec, s[6:7]
	s_andn2_saveexec_b64 s[0:1], s[0:1]
	s_cbranch_execz .LBB24_10
.LBB24_23:                              ;   in Loop: Header=BB24_8 Depth=1
	v_cmp_eq_u32_e32 vcc, 1, v18
	s_and_saveexec_b64 s[6:7], vcc
; %bb.24:                               ;   in Loop: Header=BB24_8 Depth=1
	v_mov_b32_e32 v2, v3
	v_mov_b32_e32 v3, v4
	;; [unrolled: 1-line block ×4, first 2 shown]
; %bb.25:                               ;   in Loop: Header=BB24_8 Depth=1
	s_or_b64 exec, exec, s[6:7]
	s_or_b64 exec, exec, s[0:1]
	v_cmp_gt_i64_e32 vcc, s[8:9], v[16:17]
	s_and_saveexec_b64 s[6:7], vcc
	s_cbranch_execnz .LBB24_11
	s_branch .LBB24_12
.LBB24_26:
	s_endpgm
.LBB24_27:
                                        ; implicit-def: $sgpr2_sgpr3
	s_andn2_b64 vcc, exec, s[0:1]
	s_cbranch_vccz .LBB24_4
	s_branch .LBB24_5
	.section	.rodata,"a",@progbits
	.p2align	6, 0x0
	.amdhsa_kernel _ZN2at6native12_GLOBAL__N_143distribution_elementwise_grid_stride_kernelIfLi4EZNS0_9templates4cuda21uniform_and_transformIffPNS_17CUDAGeneratorImplEZZZNS4_16geometric_kernelIS7_EEvRNS_18TensorIteratorBaseEdT_ENKUlvE_clEvENKUlvE5_clEvEUlfE_EEvSA_T1_T2_EUlP25hiprandStatePhilox4_32_10E_ZNS1_27distribution_nullary_kernelIff15HIP_vector_typeIdLj2EES7_SJ_SE_EEvSA_SG_RKT3_T4_EUlifE_EEvlNS_15PhiloxCudaStateESF_SG_
		.amdhsa_group_segment_fixed_size 0
		.amdhsa_private_segment_fixed_size 0
		.amdhsa_kernarg_size 328
		.amdhsa_user_sgpr_count 6
		.amdhsa_user_sgpr_private_segment_buffer 1
		.amdhsa_user_sgpr_dispatch_ptr 0
		.amdhsa_user_sgpr_queue_ptr 0
		.amdhsa_user_sgpr_kernarg_segment_ptr 1
		.amdhsa_user_sgpr_dispatch_id 0
		.amdhsa_user_sgpr_flat_scratch_init 0
		.amdhsa_user_sgpr_kernarg_preload_length 0
		.amdhsa_user_sgpr_kernarg_preload_offset 0
		.amdhsa_user_sgpr_private_segment_size 0
		.amdhsa_uses_dynamic_stack 0
		.amdhsa_system_sgpr_private_segment_wavefront_offset 0
		.amdhsa_system_sgpr_workgroup_id_x 1
		.amdhsa_system_sgpr_workgroup_id_y 0
		.amdhsa_system_sgpr_workgroup_id_z 0
		.amdhsa_system_sgpr_workgroup_info 0
		.amdhsa_system_vgpr_workitem_id 0
		.amdhsa_next_free_vgpr 52
		.amdhsa_next_free_sgpr 26
		.amdhsa_accum_offset 52
		.amdhsa_reserve_vcc 1
		.amdhsa_reserve_flat_scratch 0
		.amdhsa_float_round_mode_32 0
		.amdhsa_float_round_mode_16_64 0
		.amdhsa_float_denorm_mode_32 3
		.amdhsa_float_denorm_mode_16_64 3
		.amdhsa_dx10_clamp 1
		.amdhsa_ieee_mode 1
		.amdhsa_fp16_overflow 0
		.amdhsa_tg_split 0
		.amdhsa_exception_fp_ieee_invalid_op 0
		.amdhsa_exception_fp_denorm_src 0
		.amdhsa_exception_fp_ieee_div_zero 0
		.amdhsa_exception_fp_ieee_overflow 0
		.amdhsa_exception_fp_ieee_underflow 0
		.amdhsa_exception_fp_ieee_inexact 0
		.amdhsa_exception_int_div_zero 0
	.end_amdhsa_kernel
	.section	.text._ZN2at6native12_GLOBAL__N_143distribution_elementwise_grid_stride_kernelIfLi4EZNS0_9templates4cuda21uniform_and_transformIffPNS_17CUDAGeneratorImplEZZZNS4_16geometric_kernelIS7_EEvRNS_18TensorIteratorBaseEdT_ENKUlvE_clEvENKUlvE5_clEvEUlfE_EEvSA_T1_T2_EUlP25hiprandStatePhilox4_32_10E_ZNS1_27distribution_nullary_kernelIff15HIP_vector_typeIdLj2EES7_SJ_SE_EEvSA_SG_RKT3_T4_EUlifE_EEvlNS_15PhiloxCudaStateESF_SG_,"axG",@progbits,_ZN2at6native12_GLOBAL__N_143distribution_elementwise_grid_stride_kernelIfLi4EZNS0_9templates4cuda21uniform_and_transformIffPNS_17CUDAGeneratorImplEZZZNS4_16geometric_kernelIS7_EEvRNS_18TensorIteratorBaseEdT_ENKUlvE_clEvENKUlvE5_clEvEUlfE_EEvSA_T1_T2_EUlP25hiprandStatePhilox4_32_10E_ZNS1_27distribution_nullary_kernelIff15HIP_vector_typeIdLj2EES7_SJ_SE_EEvSA_SG_RKT3_T4_EUlifE_EEvlNS_15PhiloxCudaStateESF_SG_,comdat
.Lfunc_end24:
	.size	_ZN2at6native12_GLOBAL__N_143distribution_elementwise_grid_stride_kernelIfLi4EZNS0_9templates4cuda21uniform_and_transformIffPNS_17CUDAGeneratorImplEZZZNS4_16geometric_kernelIS7_EEvRNS_18TensorIteratorBaseEdT_ENKUlvE_clEvENKUlvE5_clEvEUlfE_EEvSA_T1_T2_EUlP25hiprandStatePhilox4_32_10E_ZNS1_27distribution_nullary_kernelIff15HIP_vector_typeIdLj2EES7_SJ_SE_EEvSA_SG_RKT3_T4_EUlifE_EEvlNS_15PhiloxCudaStateESF_SG_, .Lfunc_end24-_ZN2at6native12_GLOBAL__N_143distribution_elementwise_grid_stride_kernelIfLi4EZNS0_9templates4cuda21uniform_and_transformIffPNS_17CUDAGeneratorImplEZZZNS4_16geometric_kernelIS7_EEvRNS_18TensorIteratorBaseEdT_ENKUlvE_clEvENKUlvE5_clEvEUlfE_EEvSA_T1_T2_EUlP25hiprandStatePhilox4_32_10E_ZNS1_27distribution_nullary_kernelIff15HIP_vector_typeIdLj2EES7_SJ_SE_EEvSA_SG_RKT3_T4_EUlifE_EEvlNS_15PhiloxCudaStateESF_SG_
                                        ; -- End function
	.section	.AMDGPU.csdata,"",@progbits
; Kernel info:
; codeLenInByte = 3468
; NumSgprs: 30
; NumVgprs: 52
; NumAgprs: 0
; TotalNumVgprs: 52
; ScratchSize: 0
; MemoryBound: 0
; FloatMode: 240
; IeeeMode: 1
; LDSByteSize: 0 bytes/workgroup (compile time only)
; SGPRBlocks: 3
; VGPRBlocks: 6
; NumSGPRsForWavesPerEU: 30
; NumVGPRsForWavesPerEU: 52
; AccumOffset: 52
; Occupancy: 8
; WaveLimiterHint : 0
; COMPUTE_PGM_RSRC2:SCRATCH_EN: 0
; COMPUTE_PGM_RSRC2:USER_SGPR: 6
; COMPUTE_PGM_RSRC2:TRAP_HANDLER: 0
; COMPUTE_PGM_RSRC2:TGID_X_EN: 1
; COMPUTE_PGM_RSRC2:TGID_Y_EN: 0
; COMPUTE_PGM_RSRC2:TGID_Z_EN: 0
; COMPUTE_PGM_RSRC2:TIDIG_COMP_CNT: 0
; COMPUTE_PGM_RSRC3_GFX90A:ACCUM_OFFSET: 12
; COMPUTE_PGM_RSRC3_GFX90A:TG_SPLIT: 0
	.section	.text._ZN2at6native12_GLOBAL__N_143distribution_elementwise_grid_stride_kernelIfLi4EZNS0_9templates4cuda21uniform_and_transformIffPNS_17CUDAGeneratorImplEZZZNS4_16geometric_kernelIS7_EEvRNS_18TensorIteratorBaseEdT_ENKUlvE_clEvENKUlvE5_clEvEUlfE_EEvSA_T1_T2_EUlP25hiprandStatePhilox4_32_10E_ZNS1_27distribution_nullary_kernelIff15HIP_vector_typeIdLj2EES7_SJ_SE_EEvSA_SG_RKT3_T4_EUlifE0_EEvlNS_15PhiloxCudaStateESF_SG_,"axG",@progbits,_ZN2at6native12_GLOBAL__N_143distribution_elementwise_grid_stride_kernelIfLi4EZNS0_9templates4cuda21uniform_and_transformIffPNS_17CUDAGeneratorImplEZZZNS4_16geometric_kernelIS7_EEvRNS_18TensorIteratorBaseEdT_ENKUlvE_clEvENKUlvE5_clEvEUlfE_EEvSA_T1_T2_EUlP25hiprandStatePhilox4_32_10E_ZNS1_27distribution_nullary_kernelIff15HIP_vector_typeIdLj2EES7_SJ_SE_EEvSA_SG_RKT3_T4_EUlifE0_EEvlNS_15PhiloxCudaStateESF_SG_,comdat
	.globl	_ZN2at6native12_GLOBAL__N_143distribution_elementwise_grid_stride_kernelIfLi4EZNS0_9templates4cuda21uniform_and_transformIffPNS_17CUDAGeneratorImplEZZZNS4_16geometric_kernelIS7_EEvRNS_18TensorIteratorBaseEdT_ENKUlvE_clEvENKUlvE5_clEvEUlfE_EEvSA_T1_T2_EUlP25hiprandStatePhilox4_32_10E_ZNS1_27distribution_nullary_kernelIff15HIP_vector_typeIdLj2EES7_SJ_SE_EEvSA_SG_RKT3_T4_EUlifE0_EEvlNS_15PhiloxCudaStateESF_SG_ ; -- Begin function _ZN2at6native12_GLOBAL__N_143distribution_elementwise_grid_stride_kernelIfLi4EZNS0_9templates4cuda21uniform_and_transformIffPNS_17CUDAGeneratorImplEZZZNS4_16geometric_kernelIS7_EEvRNS_18TensorIteratorBaseEdT_ENKUlvE_clEvENKUlvE5_clEvEUlfE_EEvSA_T1_T2_EUlP25hiprandStatePhilox4_32_10E_ZNS1_27distribution_nullary_kernelIff15HIP_vector_typeIdLj2EES7_SJ_SE_EEvSA_SG_RKT3_T4_EUlifE0_EEvlNS_15PhiloxCudaStateESF_SG_
	.p2align	8
	.type	_ZN2at6native12_GLOBAL__N_143distribution_elementwise_grid_stride_kernelIfLi4EZNS0_9templates4cuda21uniform_and_transformIffPNS_17CUDAGeneratorImplEZZZNS4_16geometric_kernelIS7_EEvRNS_18TensorIteratorBaseEdT_ENKUlvE_clEvENKUlvE5_clEvEUlfE_EEvSA_T1_T2_EUlP25hiprandStatePhilox4_32_10E_ZNS1_27distribution_nullary_kernelIff15HIP_vector_typeIdLj2EES7_SJ_SE_EEvSA_SG_RKT3_T4_EUlifE0_EEvlNS_15PhiloxCudaStateESF_SG_,@function
_ZN2at6native12_GLOBAL__N_143distribution_elementwise_grid_stride_kernelIfLi4EZNS0_9templates4cuda21uniform_and_transformIffPNS_17CUDAGeneratorImplEZZZNS4_16geometric_kernelIS7_EEvRNS_18TensorIteratorBaseEdT_ENKUlvE_clEvENKUlvE5_clEvEUlfE_EEvSA_T1_T2_EUlP25hiprandStatePhilox4_32_10E_ZNS1_27distribution_nullary_kernelIff15HIP_vector_typeIdLj2EES7_SJ_SE_EEvSA_SG_RKT3_T4_EUlifE0_EEvlNS_15PhiloxCudaStateESF_SG_: ; @_ZN2at6native12_GLOBAL__N_143distribution_elementwise_grid_stride_kernelIfLi4EZNS0_9templates4cuda21uniform_and_transformIffPNS_17CUDAGeneratorImplEZZZNS4_16geometric_kernelIS7_EEvRNS_18TensorIteratorBaseEdT_ENKUlvE_clEvENKUlvE5_clEvEUlfE_EEvSA_T1_T2_EUlP25hiprandStatePhilox4_32_10E_ZNS1_27distribution_nullary_kernelIff15HIP_vector_typeIdLj2EES7_SJ_SE_EEvSA_SG_RKT3_T4_EUlifE0_EEvlNS_15PhiloxCudaStateESF_SG_
; %bb.0:
	s_load_dword s2, s[4:5], 0x20
	s_load_dwordx2 s[0:1], s[4:5], 0x10
	s_load_dwordx4 s[24:27], s[4:5], 0x0
	s_waitcnt lgkmcnt(0)
	s_bitcmp0_b32 s2, 0
	s_mov_b32 s2, 0
	v_pk_mov_b32 v[2:3], s[0:1], s[0:1] op_sel:[0,1]
	v_pk_mov_b32 v[10:11], s[26:27], s[26:27] op_sel:[0,1]
	s_cbranch_scc1 .LBB25_2
; %bb.1:
	v_pk_mov_b32 v[2:3], s[0:1], s[0:1] op_sel:[0,1]
	flat_load_dwordx2 v[2:3], v[2:3]
	v_pk_mov_b32 v[4:5], s[26:27], s[26:27] op_sel:[0,1]
	flat_load_dwordx2 v[10:11], v[4:5]
	s_load_dwordx2 s[0:1], s[4:5], 0x18
	s_waitcnt lgkmcnt(0)
	v_mov_b32_e32 v1, s1
	s_waitcnt vmcnt(0)
	v_add_co_u32_e32 v2, vcc, s0, v2
	v_addc_co_u32_e32 v3, vcc, v3, v1, vcc
.LBB25_2:
	s_load_dword s0, s[4:5], 0x154
	s_load_dword s7, s[4:5], 0x148
	s_waitcnt lgkmcnt(0)
	s_and_b32 s8, s0, 0xffff
	s_add_u32 s9, s24, -1
	s_mul_i32 s33, s7, s8
	s_addc_u32 s3, s25, -1
	s_lshl_b32 s58, s33, 2
	s_cmp_lg_u64 s[2:3], 0
	s_mov_b64 s[0:1], -1
	s_cbranch_scc0 .LBB25_83
; %bb.3:
	v_cvt_f32_u32_e32 v1, s58
	v_cvt_f32_ubyte0_e32 v4, 0
	s_sub_u32 s2, 0, s58
	s_subb_u32 s10, 0, 0
	v_madmk_f32 v1, v4, 0x4f800000, v1
	v_rcp_f32_e32 v1, v1
	v_mul_f32_e32 v1, 0x5f7ffffc, v1
	v_mul_f32_e32 v4, 0x2f800000, v1
	v_trunc_f32_e32 v4, v4
	v_madmk_f32 v1, v4, 0xcf800000, v1
	v_cvt_u32_f32_e32 v4, v4
	v_cvt_u32_f32_e32 v1, v1
	v_readfirstlane_b32 s11, v4
	v_readfirstlane_b32 s12, v1
	s_mul_i32 s13, s2, s11
	s_mul_hi_u32 s15, s2, s12
	s_mul_i32 s14, s10, s12
	s_add_i32 s13, s15, s13
	s_add_i32 s13, s13, s14
	s_mul_i32 s16, s2, s12
	s_mul_hi_u32 s14, s12, s13
	s_mul_i32 s15, s12, s13
	s_mul_hi_u32 s12, s12, s16
	s_add_u32 s12, s12, s15
	s_addc_u32 s14, 0, s14
	s_mul_hi_u32 s17, s11, s16
	s_mul_i32 s16, s11, s16
	s_add_u32 s12, s12, s16
	s_mul_hi_u32 s15, s11, s13
	s_addc_u32 s12, s14, s17
	s_addc_u32 s14, s15, 0
	s_mul_i32 s13, s11, s13
	s_add_u32 s12, s12, s13
	s_addc_u32 s13, 0, s14
	v_add_co_u32_e32 v1, vcc, s12, v1
	s_cmp_lg_u64 vcc, 0
	s_addc_u32 s11, s11, s13
	v_readfirstlane_b32 s13, v1
	s_mul_i32 s12, s2, s11
	s_mul_hi_u32 s14, s2, s13
	s_add_i32 s12, s14, s12
	s_mul_i32 s10, s10, s13
	s_add_i32 s12, s12, s10
	s_mul_i32 s2, s2, s13
	s_mul_hi_u32 s14, s11, s2
	s_mul_i32 s15, s11, s2
	s_mul_i32 s17, s13, s12
	s_mul_hi_u32 s2, s13, s2
	s_mul_hi_u32 s16, s13, s12
	s_add_u32 s2, s2, s17
	s_addc_u32 s13, 0, s16
	s_add_u32 s2, s2, s15
	s_mul_hi_u32 s10, s11, s12
	s_addc_u32 s2, s13, s14
	s_addc_u32 s10, s10, 0
	s_mul_i32 s12, s11, s12
	s_add_u32 s2, s2, s12
	s_addc_u32 s10, 0, s10
	v_add_co_u32_e32 v1, vcc, s2, v1
	s_cmp_lg_u64 vcc, 0
	s_addc_u32 s12, s11, s10
	s_ashr_i32 s10, s3, 31
	s_add_u32 s2, s9, s10
	s_mov_b32 s11, s10
	s_addc_u32 s3, s3, s10
	s_xor_b64 s[2:3], s[2:3], s[10:11]
	v_readfirstlane_b32 s15, v1
	s_mul_i32 s14, s2, s12
	s_mul_hi_u32 s16, s2, s15
	s_mul_hi_u32 s13, s2, s12
	s_add_u32 s14, s16, s14
	s_addc_u32 s13, 0, s13
	s_mul_hi_u32 s17, s3, s15
	s_mul_i32 s15, s3, s15
	s_add_u32 s14, s14, s15
	s_mul_hi_u32 s16, s3, s12
	s_addc_u32 s13, s13, s17
	s_addc_u32 s14, s16, 0
	s_mul_i32 s12, s3, s12
	s_add_u32 s12, s13, s12
	s_addc_u32 s13, 0, s14
	s_add_u32 s14, s12, 1
	s_addc_u32 s15, s13, 0
	s_add_u32 s16, s12, 2
	s_mul_i32 s18, s58, s13
	s_mul_hi_u32 s19, s58, s12
	s_addc_u32 s17, s13, 0
	s_add_i32 s19, s19, s18
	s_mul_i32 s18, s58, s12
	v_mov_b32_e32 v1, s18
	v_sub_co_u32_e32 v1, vcc, s2, v1
	s_cmp_lg_u64 vcc, 0
	s_subb_u32 s2, s3, s19
	v_subrev_co_u32_e32 v4, vcc, s58, v1
	s_cmp_lg_u64 vcc, 0
	s_subb_u32 s3, s2, 0
	v_readfirstlane_b32 s18, v4
	s_cmp_ge_u32 s18, s58
	s_cselect_b32 s18, -1, 0
	s_cmp_eq_u32 s3, 0
	s_cselect_b32 s3, s18, -1
	s_cmp_lg_u32 s3, 0
	s_cselect_b32 s3, s17, s15
	v_readfirstlane_b32 s15, v1
	s_cselect_b32 s14, s16, s14
	s_cmp_ge_u32 s15, s58
	s_cselect_b32 s15, -1, 0
	s_cmp_eq_u32 s2, 0
	s_cselect_b32 s2, s15, -1
	s_cmp_lg_u32 s2, 0
	s_cselect_b32 s3, s3, s13
	s_cselect_b32 s2, s14, s12
	s_xor_b64 s[2:3], s[2:3], s[10:11]
	s_sub_u32 s2, s2, s10
	s_subb_u32 s3, s3, s10
	s_cbranch_execnz .LBB25_5
.LBB25_4:
	v_cvt_f32_u32_e32 v1, s58
	s_sub_i32 s0, 0, s58
	s_mov_b32 s3, 0
	v_rcp_iflag_f32_e32 v1, v1
	v_mul_f32_e32 v1, 0x4f7ffffe, v1
	v_cvt_u32_f32_e32 v1, v1
	v_readfirstlane_b32 s1, v1
	s_mul_i32 s0, s0, s1
	s_mul_hi_u32 s0, s1, s0
	s_add_i32 s1, s1, s0
	s_mul_hi_u32 s0, s9, s1
	s_mul_i32 s2, s0, s58
	s_sub_i32 s2, s9, s2
	s_add_i32 s1, s0, 1
	s_sub_i32 s9, s2, s58
	s_cmp_ge_u32 s2, s58
	s_cselect_b32 s0, s1, s0
	s_cselect_b32 s2, s9, s2
	s_add_i32 s1, s0, 1
	s_cmp_ge_u32 s2, s58
	s_cselect_b32 s2, s1, s0
.LBB25_5:
	v_mov_b32_e32 v1, 0
	v_mov_b32_e32 v4, s6
	v_mad_u64_u32 v[12:13], s[0:1], s8, v4, v[0:1]
	s_add_u32 s0, s2, 1
	s_addc_u32 s1, s3, 0
	s_mul_hi_u32 s2, s7, s8
	s_mul_i32 s1, s33, s1
	s_mul_hi_u32 s3, s33, s0
	s_add_i32 s1, s3, s1
	s_mul_i32 s2, s2, s0
	s_add_i32 s1, s1, s2
	s_mul_i32 s0, s33, s0
	s_lshl_b64 s[26:27], s[0:1], 2
	v_cmp_gt_i64_e32 vcc, s[26:27], v[12:13]
	s_and_saveexec_b64 s[0:1], vcc
	s_cbranch_execz .LBB25_82
; %bb.6:
	s_mov_b32 s0, 0x5384540f
	v_mov_b32_e32 v0, v11
	v_add_co_u32_e32 v20, vcc, s0, v10
	s_mov_b32 s0, 0x646e171e
	v_add_co_u32_e32 v21, vcc, s0, v0
	s_mov_b32 s0, 0x1715609d
	;; [unrolled: 2-line block ×6, first 2 shown]
	v_alignbit_b32 v27, v3, v2, 2
	s_mov_b32 s60, 0xd2511f53
	v_add_co_u32_e32 v26, vcc, s0, v10
	v_mad_u64_u32 v[4:5], s[0:1], v27, s60, 0
	v_xor_b32_e32 v1, v5, v11
	v_xor_b32_e32 v1, v1, v13
	s_mov_b32 s61, 0xcd9e8d57
	v_mad_u64_u32 v[6:7], s[0:1], v1, s61, 0
	v_xor_b32_e32 v1, v26, v7
	v_mad_u64_u32 v[8:9], s[0:1], v12, s61, 0
	v_and_b32_e32 v16, 3, v2
	v_xor_b32_e32 v1, v1, v8
	v_xor_b32_e32 v2, v10, v9
	v_lshrrev_b32_e32 v28, 2, v3
	v_mad_u64_u32 v[14:15], s[0:1], v1, s60, 0
	v_xor_b32_e32 v2, v2, v28
	v_xor_b32_e32 v1, v25, v15
	v_mad_u64_u32 v[2:3], s[0:1], v2, s60, 0
	v_xor_b32_e32 v1, v1, v2
	v_mad_u64_u32 v[8:9], s[0:1], v1, s61, 0
	s_mov_b32 s0, 0xbb67ae85
	v_add_co_u32_e32 v29, vcc, s0, v0
	v_xor_b32_e32 v2, v29, v3
	v_xor_b32_e32 v2, v2, v4
	v_xor_b32_e32 v1, v24, v9
	v_mad_u64_u32 v[2:3], s[0:1], v2, s61, 0
	v_xor_b32_e32 v1, v1, v2
	v_mad_u64_u32 v[4:5], s[0:1], v1, s60, 0
	s_mov_b32 s0, 0x3c6ef372
	v_add_co_u32_e32 v30, vcc, s0, v10
	v_xor_b32_e32 v2, v30, v3
	;; [unrolled: 8-line block ×6, first 2 shown]
	v_add_co_u32_e32 v19, vcc, 0xdb3d7428, v0
	v_xor_b32_e32 v2, v2, v6
	v_xor_b32_e32 v1, v19, v39
	v_mad_u64_u32 v[2:3], s[0:1], v2, s60, 0
	v_xor_b32_e32 v1, v1, v2
	v_mad_u64_u32 v[40:41], s[0:1], v1, s61, 0
	s_mov_b32 s0, 0x1fd5c5a3
	v_add_co_u32_e32 v35, vcc, s0, v0
	v_xor_b32_e32 v0, v35, v3
	v_xor_b32_e32 v0, v0, v14
	s_load_dwordx2 s[46:47], s[4:5], 0xf4
	s_load_dwordx4 s[28:31], s[4:5], 0x138
	v_mad_u64_u32 v[0:1], s[0:1], v0, s61, 0
	s_mov_b32 s0, 0xf1bbcdc8
	v_add_u32_e32 v17, 0x8ff34781, v10
	v_xor_b32_e32 v0, v41, v0
	v_add_co_u32_e32 v36, vcc, s0, v10
	v_xor_b32_e32 v4, v17, v0
	v_xor_b32_e32 v0, v36, v1
	;; [unrolled: 1-line block ×3, first 2 shown]
	s_waitcnt lgkmcnt(0)
	v_cvt_f32_f64_e32 v2, s[30:31]
	v_mad_u64_u32 v[0:1], s[0:1], v0, s60, 0
	v_sub_f32_e32 v3, 1.0, v2
	v_add_u32_e32 v18, 0x96a522ad, v11
	v_xor_b32_e32 v1, v1, v38
	v_mov_b32_e32 v7, v0
	v_add_f32_e32 v0, -1.0, v3
	v_xor_b32_e32 v6, v18, v1
	v_sub_f32_e32 v1, v0, v3
	v_add_f32_e32 v1, 1.0, v1
	v_sub_f32_e64 v0, -v2, v0
	v_add_f32_e32 v8, v0, v1
	v_frexp_mant_f32_e32 v9, v3
	s_mov_b32 s2, 0x3f2aaaab
	v_cvt_f64_f32_e32 v[0:1], v3
	v_frexp_exp_i32_f64_e32 v0, v[0:1]
	v_cmp_gt_f32_e32 vcc, s2, v9
	v_subbrev_co_u32_e32 v0, vcc, 0, v0, vcc
	v_sub_u32_e32 v1, 0, v0
	v_ldexp_f32 v3, v3, v1
	v_ldexp_f32 v1, v8, v1
	v_add_f32_e32 v8, -1.0, v3
	v_add_f32_e32 v15, 1.0, v3
	v_add_f32_e32 v9, 1.0, v8
	v_add_f32_e32 v37, -1.0, v15
	v_sub_f32_e32 v9, v3, v9
	v_sub_f32_e32 v3, v3, v37
	v_add_f32_e32 v9, v1, v9
	v_add_f32_e32 v1, v1, v3
	;; [unrolled: 1-line block ×3, first 2 shown]
	v_rcp_f32_e32 v37, v3
	v_add_f32_e32 v14, v8, v9
	v_sub_f32_e32 v8, v14, v8
	v_sub_f32_e32 v8, v9, v8
	;; [unrolled: 1-line block ×4, first 2 shown]
	v_mul_f32_e32 v9, v14, v37
	v_mul_f32_e32 v15, v3, v9
	v_fma_f32 v38, v9, v3, -v15
	v_fmac_f32_e32 v38, v9, v1
	v_add_f32_e32 v39, v15, v38
	v_mov_b32_e32 v5, v40
	v_sub_f32_e32 v40, v14, v39
	v_sub_f32_e32 v14, v14, v40
	;; [unrolled: 1-line block ×4, first 2 shown]
	v_add_f32_e32 v8, v8, v14
	v_sub_f32_e32 v14, v15, v38
	v_add_f32_e32 v8, v14, v8
	v_add_f32_e32 v14, v40, v8
	v_mul_f32_e32 v15, v37, v14
	v_mul_f32_e32 v38, v3, v15
	v_fma_f32 v3, v15, v3, -v38
	v_fmac_f32_e32 v3, v15, v1
	v_sub_f32_e32 v1, v40, v14
	v_add_f32_e32 v1, v8, v1
	v_add_f32_e32 v8, v38, v3
	v_sub_f32_e32 v39, v14, v8
	v_sub_f32_e32 v14, v14, v39
	;; [unrolled: 1-line block ×4, first 2 shown]
	v_add_f32_e32 v1, v1, v8
	v_sub_f32_e32 v3, v38, v3
	v_add_f32_e32 v1, v3, v1
	v_add_f32_e32 v3, v9, v15
	;; [unrolled: 1-line block ×3, first 2 shown]
	v_sub_f32_e32 v8, v3, v9
	v_mul_f32_e32 v1, v37, v1
	v_sub_f32_e32 v8, v15, v8
	v_add_f32_e32 v1, v8, v1
	v_cvt_f32_i32_e32 v0, v0
	v_add_f32_e32 v8, v3, v1
	v_mul_f32_e32 v9, v8, v8
	v_mov_b32_e32 v14, 0x3ecc95a3
	v_fmac_f32_e32 v14, 0x3e9b6dac, v9
	v_mov_b32_e32 v15, 0x3f2aaada
	v_fmac_f32_e32 v15, v9, v14
	s_mov_b32 s2, 0x3f317218
	v_mul_f32_e32 v14, 0x3f317218, v0
	v_fma_f32 v37, v0, s2, -v14
	v_fmac_f32_e32 v37, 0xb102e308, v0
	v_sub_f32_e32 v0, v8, v3
	v_sub_f32_e32 v0, v1, v0
	v_add_f32_e32 v1, v14, v37
	v_sub_f32_e32 v3, v1, v14
	v_ldexp_f32 v14, v8, 1
	v_mul_f32_e32 v8, v8, v9
	v_mul_f32_e32 v8, v8, v15
	v_add_f32_e32 v9, v14, v8
	v_sub_f32_e32 v14, v9, v14
	v_ldexp_f32 v0, v0, 1
	v_sub_f32_e32 v8, v8, v14
	v_add_f32_e32 v0, v0, v8
	v_add_f32_e32 v8, v9, v0
	v_sub_f32_e32 v9, v8, v9
	v_sub_f32_e32 v0, v0, v9
	v_add_f32_e32 v9, v1, v8
	v_sub_f32_e32 v14, v9, v1
	v_sub_f32_e32 v15, v9, v14
	;; [unrolled: 1-line block ×5, first 2 shown]
	v_add_f32_e32 v1, v8, v1
	v_add_f32_e32 v8, v3, v0
	v_sub_f32_e32 v14, v8, v3
	v_sub_f32_e32 v15, v8, v14
	;; [unrolled: 1-line block ×4, first 2 shown]
	v_add_f32_e32 v1, v8, v1
	v_add_f32_e32 v0, v0, v3
	;; [unrolled: 1-line block ×3, first 2 shown]
	s_load_dwordx8 s[8:15], s[4:5], 0x30
	v_sub_f32_e32 v8, v3, v9
	v_sub_f32_e32 v1, v1, v8
	v_add_f32_e32 v0, v0, v1
	s_mov_b32 s2, 0xff800000
	v_add_f32_e32 v0, v3, v0
	v_cmp_eq_f32_e32 vcc, s2, v2
	s_add_u32 s34, s4, 48
	v_cndmask_b32_e64 v0, v0, -v2, vcc
	v_mov_b32_e32 v1, 0x7fc00000
	v_cmp_nlt_f32_e32 vcc, 1.0, v2
	s_addc_u32 s35, s5, 0
	s_waitcnt lgkmcnt(0)
	s_add_i32 s0, s8, -1
	v_cndmask_b32_e32 v0, v1, v0, vcc
	v_mov_b32_e32 v1, 0xff800000
	v_cmp_neq_f32_e32 vcc, 1.0, v2
	s_cmp_gt_u32 s0, 1
	v_cndmask_b32_e32 v0, v1, v0, vcc
	v_log_f32_e32 v1, s0
	s_cselect_b64 s[40:41], -1, 0
	s_cmp_lg_u32 s8, 0
	s_cselect_b64 s[42:43], -1, 0
	s_add_u32 s44, s4, 0xf4
	s_mov_b32 s2, 0x33800000
	s_addc_u32 s45, s5, 0
	s_min_u32 s1, s0, 15
	v_cmp_lt_f32_e64 s[2:3], |v2|, s2
	s_cmp_gt_u32 s8, 1
	v_cndmask_b32_e64 v37, v0, -v2, s[2:3]
	s_mov_b32 s8, 0x3f317217
	v_mul_f32_e32 v0, 0x3f317217, v1
	v_fma_f32 v2, v1, s8, -v0
	v_fmac_f32_e32 v2, 0x3377d1cf, v1
	s_mov_b32 s15, 0x7f800000
	v_add_f32_e32 v0, v0, v2
	v_cmp_lt_f32_e64 vcc, |v1|, s15
	v_cndmask_b32_e32 v0, v1, v0, vcc
	v_div_scale_f32 v1, s[2:3], v37, v37, v0
	v_rcp_f32_e32 v2, v1
	s_cselect_b64 s[48:49], -1, 0
	s_add_i32 s1, s1, 1
	s_lshl_b32 s62, s33, 1
	v_fma_f32 v3, -v1, v2, 1.0
	v_fmac_f32_e32 v2, v3, v2
	v_div_scale_f32 v3, vcc, v0, v37, v0
	v_mul_f32_e32 v8, v3, v2
	v_fma_f32 v9, -v1, v8, v3
	v_fmac_f32_e32 v8, v9, v2
	s_and_b32 s66, s1, 3
	v_fma_f32 v1, -v1, v8, v3
	s_cmp_lg_u32 s0, 2
	v_div_fmas_f32 v1, v1, v2, v8
	s_cselect_b64 s[30:31], -1, 0
	s_and_b32 s67, s1, 28
	s_mov_b32 s59, 0
	v_div_fixup_f32 v0, v1, v37, v0
	s_cmp_lg_u32 s66, 0
	s_mov_b32 s63, s59
	v_ceil_f32_e32 v38, v0
	s_mul_i32 s64, s33, 3
	s_mov_b32 s65, s59
	s_mov_b64 s[50:51], 0
	s_cselect_b64 s[52:53], -1, 0
	s_mov_b32 s68, 0x800000
	v_mov_b32_e32 v39, 0x4f800000
	v_mov_b32_e32 v40, 0x41b17218
	;; [unrolled: 1-line block ×4, first 2 shown]
	s_branch .LBB25_9
.LBB25_7:                               ;   in Loop: Header=BB25_9 Depth=1
	global_store_dword v6, v38, s[28:29]
.LBB25_8:                               ;   in Loop: Header=BB25_9 Depth=1
	s_or_b64 exec, exec, s[36:37]
	v_add_co_u32_e32 v12, vcc, s58, v12
	v_mov_b32_e32 v3, v14
	v_addc_co_u32_e32 v13, vcc, 0, v13, vcc
	v_cmp_le_i64_e32 vcc, s[26:27], v[12:13]
	v_pk_mov_b32 v[6:7], v[2:3], v[2:3] op_sel:[0,1]
	s_or_b64 s[50:51], vcc, s[50:51]
	v_pk_mov_b32 v[4:5], v[0:1], v[0:1] op_sel:[0,1]
	s_barrier
	s_andn2_b64 exec, exec, s[50:51]
	s_cbranch_execz .LBB25_82
.LBB25_9:                               ; =>This Loop Header: Depth=1
                                        ;     Child Loop BB25_24 Depth 2
                                        ;     Child Loop BB25_30 Depth 2
	;; [unrolled: 1-line block ×8, first 2 shown]
	v_add_co_u32_e32 v27, vcc, 1, v27
	v_cndmask_b32_e64 v0, 0, 1, vcc
	v_addc_co_u32_e32 v28, vcc, 0, v28, vcc
	v_cmp_eq_u32_e32 vcc, 0, v28
	v_cndmask_b32_e32 v0, 0, v0, vcc
	v_add_u32_e32 v41, v0, v41
	v_cmp_eq_u32_e32 vcc, 0, v41
	v_cndmask_b32_e32 v0, 0, v0, vcc
	v_add_u32_e32 v42, v0, v42
	v_mad_u64_u32 v[0:1], s[0:1], v27, s60, 0
	v_mad_u64_u32 v[2:3], s[0:1], v41, s61, 0
	v_xor_b32_e32 v1, v1, v11
	v_xor_b32_e32 v3, v3, v10
	v_xor_b32_e32 v1, v42, v1
	v_xor_b32_e32 v3, v28, v3
	v_mad_u64_u32 v[14:15], s[0:1], v1, s61, 0
	v_mad_u64_u32 v[8:9], s[0:1], v3, s60, 0
	v_xor_b32_e32 v1, v26, v15
	v_xor_b32_e32 v1, v1, v2
	v_xor_b32_e32 v2, v29, v9
	v_xor_b32_e32 v2, v2, v0
	;; [unrolled: 6-line block ×10, first 2 shown]
	v_mov_b32_e32 v1, v8
	v_mov_b32_e32 v2, v9
	v_cmp_lt_i32_e32 vcc, 1, v16
	s_and_saveexec_b64 s[0:1], vcc
	s_xor_b64 s[0:1], exec, s[0:1]
	s_cbranch_execz .LBB25_15
; %bb.10:                               ;   in Loop: Header=BB25_9 Depth=1
	v_cmp_lt_i32_e32 vcc, 2, v16
	s_and_saveexec_b64 s[2:3], vcc
	s_xor_b64 s[2:3], exec, s[2:3]
; %bb.11:                               ;   in Loop: Header=BB25_9 Depth=1
	v_mov_b32_e32 v6, v7
	v_mov_b32_e32 v7, v0
	v_pk_mov_b32 v[4:5], v[6:7], v[6:7] op_sel:[0,1]
	v_pk_mov_b32 v[6:7], v[8:9], v[8:9] op_sel:[0,1]
                                        ; implicit-def: $vgpr8_vgpr9
; %bb.12:                               ;   in Loop: Header=BB25_9 Depth=1
	s_andn2_saveexec_b64 s[2:3], s[2:3]
; %bb.13:                               ;   in Loop: Header=BB25_9 Depth=1
	v_mov_b32_e32 v4, v6
	v_mov_b32_e32 v5, v7
	;; [unrolled: 1-line block ×4, first 2 shown]
; %bb.14:                               ;   in Loop: Header=BB25_9 Depth=1
	s_or_b64 exec, exec, s[2:3]
.LBB25_15:                              ;   in Loop: Header=BB25_9 Depth=1
	s_andn2_saveexec_b64 s[0:1], s[0:1]
	s_cbranch_execz .LBB25_19
; %bb.16:                               ;   in Loop: Header=BB25_9 Depth=1
	v_cmp_eq_u32_e32 vcc, 1, v16
	s_and_saveexec_b64 s[2:3], vcc
; %bb.17:                               ;   in Loop: Header=BB25_9 Depth=1
	v_mov_b32_e32 v4, v5
	v_mov_b32_e32 v5, v6
	;; [unrolled: 1-line block ×4, first 2 shown]
; %bb.18:                               ;   in Loop: Header=BB25_9 Depth=1
	s_or_b64 exec, exec, s[2:3]
.LBB25_19:                              ;   in Loop: Header=BB25_9 Depth=1
	s_or_b64 exec, exec, s[0:1]
	v_cndmask_b32_e64 v3, 0, 1, s[40:41]
	v_cmp_gt_i64_e32 vcc, s[24:25], v[12:13]
	v_cmp_ne_u32_e64 s[0:1], 1, v3
	s_and_saveexec_b64 s[54:55], vcc
	s_cbranch_execz .LBB25_35
; %bb.20:                               ;   in Loop: Header=BB25_9 Depth=1
	s_and_b64 vcc, exec, s[0:1]
	s_cbranch_vccnz .LBB25_26
; %bb.21:                               ;   in Loop: Header=BB25_9 Depth=1
	s_andn2_b64 vcc, exec, s[42:43]
	s_cbranch_vccnz .LBB25_27
; %bb.22:                               ;   in Loop: Header=BB25_9 Depth=1
	s_mov_b32 s4, 0
	s_andn2_b64 vcc, exec, s[30:31]
	v_mov_b32_e32 v8, 0
	s_cbranch_vccnz .LBB25_28
; %bb.23:                               ;   in Loop: Header=BB25_9 Depth=1
	s_mov_b32 s69, 0
	v_mov_b32_e32 v8, 0
	s_mov_b64 s[2:3], s[34:35]
	s_mov_b64 s[56:57], s[44:45]
	v_mov_b32_e32 v3, v12
.LBB25_24:                              ;   Parent Loop BB25_9 Depth=1
                                        ; =>  This Inner Loop Header: Depth=2
	s_load_dwordx8 s[16:23], s[2:3], 0x4
	s_load_dwordx4 s[4:7], s[2:3], 0x24
	s_load_dwordx4 s[36:39], s[56:57], 0x0
	s_add_u32 s2, s2, 48
	s_addc_u32 s3, s3, 0
	s_waitcnt lgkmcnt(0)
	v_mul_hi_u32 v9, s17, v3
	v_add_u32_e32 v9, v3, v9
	v_lshrrev_b32_e32 v9, s18, v9
	v_mul_lo_u32 v15, v9, s16
	v_mul_hi_u32 v43, s20, v9
	v_sub_u32_e32 v3, v3, v15
	v_add_u32_e32 v15, v9, v43
	v_lshrrev_b32_e32 v15, s21, v15
	v_mul_lo_u32 v43, v15, s19
	v_mul_hi_u32 v44, s23, v15
	v_sub_u32_e32 v9, v9, v43
	v_add_u32_e32 v43, v15, v44
	v_mul_lo_u32 v3, v3, s36
	v_mul_lo_u32 v9, v9, s37
	v_lshrrev_b32_e32 v43, s4, v43
	v_add3_u32 v8, v3, v8, v9
	v_mul_lo_u32 v3, v43, s22
	v_mul_hi_u32 v9, s6, v43
	v_sub_u32_e32 v3, v15, v3
	v_add_u32_e32 v9, v43, v9
	v_mul_lo_u32 v15, v3, s38
	v_lshrrev_b32_e32 v3, s7, v9
	s_add_i32 s69, s69, 4
	v_mul_lo_u32 v9, v3, s5
	s_add_u32 s56, s56, 16
	v_sub_u32_e32 v9, v43, v9
	s_addc_u32 s57, s57, 0
	v_mul_lo_u32 v9, v9, s39
	s_cmp_lg_u32 s67, s69
	v_add3_u32 v8, v15, v8, v9
	s_cbranch_scc1 .LBB25_24
; %bb.25:                               ;   in Loop: Header=BB25_9 Depth=1
	s_mov_b32 s4, s67
	s_andn2_b64 vcc, exec, s[52:53]
	s_cbranch_vccz .LBB25_29
	s_branch .LBB25_31
.LBB25_26:                              ;   in Loop: Header=BB25_9 Depth=1
                                        ; implicit-def: $vgpr8
	s_branch .LBB25_32
.LBB25_27:                              ;   in Loop: Header=BB25_9 Depth=1
	v_mov_b32_e32 v8, 0
	s_branch .LBB25_31
.LBB25_28:                              ;   in Loop: Header=BB25_9 Depth=1
	v_mov_b32_e32 v3, v12
	s_andn2_b64 vcc, exec, s[52:53]
	s_cbranch_vccnz .LBB25_31
.LBB25_29:                              ;   in Loop: Header=BB25_9 Depth=1
	s_lshl_b32 s2, s4, 2
	s_add_u32 s2, s44, s2
	s_addc_u32 s3, s45, 0
	s_mul_i32 s4, s4, 12
	s_add_u32 s4, s34, s4
	s_addc_u32 s5, s35, 0
	s_mov_b32 s6, s66
.LBB25_30:                              ;   Parent Loop BB25_9 Depth=1
                                        ; =>  This Inner Loop Header: Depth=2
	s_load_dwordx2 s[16:17], s[4:5], 0x4
	s_load_dword s7, s[4:5], 0xc
	s_load_dword s18, s[2:3], 0x0
	s_add_u32 s4, s4, 12
	s_addc_u32 s5, s5, 0
	s_waitcnt lgkmcnt(0)
	v_mul_hi_u32 v9, s17, v3
	v_add_u32_e32 v9, v3, v9
	v_lshrrev_b32_e32 v9, s7, v9
	s_add_u32 s2, s2, 4
	v_mul_lo_u32 v15, v9, s16
	s_addc_u32 s3, s3, 0
	s_add_i32 s6, s6, -1
	v_sub_u32_e32 v15, v3, v15
	s_cmp_lg_u32 s6, 0
	v_mov_b32_e32 v3, v9
	v_mad_u64_u32 v[8:9], s[16:17], v15, s18, v[8:9]
	s_cbranch_scc1 .LBB25_30
.LBB25_31:                              ;   in Loop: Header=BB25_9 Depth=1
	s_cbranch_execnz .LBB25_34
.LBB25_32:                              ;   in Loop: Header=BB25_9 Depth=1
	v_mul_hi_u32 v3, v12, s10
	v_add_u32_e32 v3, v3, v12
	v_lshrrev_b32_e32 v3, s11, v3
	v_mul_lo_u32 v8, v3, s9
	v_sub_u32_e32 v8, v12, v8
	s_andn2_b64 vcc, exec, s[48:49]
	v_mul_lo_u32 v8, v8, s46
	s_cbranch_vccnz .LBB25_34
; %bb.33:                               ;   in Loop: Header=BB25_9 Depth=1
	v_mul_hi_u32 v9, s13, v3
	v_add_u32_e32 v9, v3, v9
	v_lshrrev_b32_e32 v9, s14, v9
	v_mul_lo_u32 v9, v9, s12
	v_sub_u32_e32 v3, v3, v9
	v_mad_u64_u32 v[8:9], s[2:3], v3, s47, v[8:9]
.LBB25_34:                              ;   in Loop: Header=BB25_9 Depth=1
	v_lshrrev_b32_e32 v3, 11, v5
	v_cvt_f64_u32_e32 v[44:45], v3
	v_ldexp_f64 v[44:45], v[44:45], 32
	v_cvt_f64_u32_e32 v[4:5], v4
	v_add_f64 v[4:5], v[44:45], v[4:5]
	v_mov_b32_e32 v44, 0
	v_mov_b32_e32 v45, 0x3ca00000
	v_fmac_f64_e32 v[44:45], 0x3ca00000, v[4:5]
	v_cvt_f32_f64_e32 v3, v[44:45]
	v_cmp_gt_f32_e32 vcc, s68, v3
	v_cndmask_b32_e32 v4, 1.0, v39, vcc
	v_mul_f32_e32 v3, v3, v4
	v_log_f32_e32 v3, v3
	v_mul_f32_e32 v4, 0x3f317217, v3
	v_fma_f32 v5, v3, s8, -v4
	v_fmac_f32_e32 v5, 0x3377d1cf, v3
	v_add_f32_e32 v4, v4, v5
	v_cmp_lt_f32_e64 s[2:3], |v3|, s15
	v_cndmask_b32_e64 v3, v3, v4, s[2:3]
	v_cndmask_b32_e32 v4, 0, v40, vcc
	v_sub_f32_e32 v3, v3, v4
	v_div_scale_f32 v4, s[2:3], v37, v37, v3
	v_rcp_f32_e32 v5, v4
	v_fma_f32 v9, -v4, v5, 1.0
	v_fmac_f32_e32 v5, v9, v5
	v_div_scale_f32 v9, vcc, v3, v37, v3
	v_mul_f32_e32 v15, v9, v5
	v_fma_f32 v43, -v4, v15, v9
	v_fmac_f32_e32 v15, v43, v5
	v_fma_f32 v4, -v4, v15, v9
	v_div_fmas_f32 v4, v4, v5, v15
	v_div_fixup_f32 v3, v4, v37, v3
	v_ceil_f32_e32 v3, v3
	global_store_dword v8, v3, s[28:29]
.LBB25_35:                              ;   in Loop: Header=BB25_9 Depth=1
	s_or_b64 exec, exec, s[54:55]
	v_mov_b32_e32 v3, s59
	v_add_co_u32_e32 v8, vcc, s33, v12
	v_addc_co_u32_e32 v9, vcc, v13, v3, vcc
	v_cmp_gt_i64_e32 vcc, s[24:25], v[8:9]
	s_and_saveexec_b64 s[54:55], vcc
	s_cbranch_execz .LBB25_51
; %bb.36:                               ;   in Loop: Header=BB25_9 Depth=1
	s_and_b64 vcc, exec, s[0:1]
	s_cbranch_vccnz .LBB25_42
; %bb.37:                               ;   in Loop: Header=BB25_9 Depth=1
	s_andn2_b64 vcc, exec, s[42:43]
	s_cbranch_vccnz .LBB25_43
; %bb.38:                               ;   in Loop: Header=BB25_9 Depth=1
	s_mov_b32 s4, 0
	s_andn2_b64 vcc, exec, s[30:31]
	v_mov_b32_e32 v4, 0
	s_cbranch_vccnz .LBB25_44
; %bb.39:                               ;   in Loop: Header=BB25_9 Depth=1
	s_mov_b32 s69, 0
	v_mov_b32_e32 v4, 0
	s_mov_b64 s[2:3], s[34:35]
	s_mov_b64 s[56:57], s[44:45]
	v_mov_b32_e32 v3, v8
.LBB25_40:                              ;   Parent Loop BB25_9 Depth=1
                                        ; =>  This Inner Loop Header: Depth=2
	s_load_dwordx8 s[16:23], s[2:3], 0x4
	s_load_dwordx4 s[4:7], s[2:3], 0x24
	s_load_dwordx4 s[36:39], s[56:57], 0x0
	s_add_u32 s2, s2, 48
	s_addc_u32 s3, s3, 0
	s_waitcnt lgkmcnt(0)
	v_mul_hi_u32 v5, s17, v3
	v_add_u32_e32 v5, v3, v5
	v_lshrrev_b32_e32 v5, s18, v5
	v_mul_lo_u32 v9, v5, s16
	v_mul_hi_u32 v15, s20, v5
	v_sub_u32_e32 v3, v3, v9
	v_add_u32_e32 v9, v5, v15
	v_lshrrev_b32_e32 v9, s21, v9
	v_mul_lo_u32 v15, v9, s19
	v_mul_hi_u32 v43, s23, v9
	v_sub_u32_e32 v5, v5, v15
	v_add_u32_e32 v15, v9, v43
	v_mul_lo_u32 v3, v3, s36
	v_mul_lo_u32 v5, v5, s37
	v_lshrrev_b32_e32 v15, s4, v15
	v_add3_u32 v4, v3, v4, v5
	v_mul_lo_u32 v3, v15, s22
	v_mul_hi_u32 v5, s6, v15
	v_sub_u32_e32 v3, v9, v3
	v_add_u32_e32 v5, v15, v5
	v_mul_lo_u32 v9, v3, s38
	v_lshrrev_b32_e32 v3, s7, v5
	s_add_i32 s69, s69, 4
	v_mul_lo_u32 v5, v3, s5
	s_add_u32 s56, s56, 16
	v_sub_u32_e32 v5, v15, v5
	s_addc_u32 s57, s57, 0
	v_mul_lo_u32 v5, v5, s39
	s_cmp_eq_u32 s67, s69
	v_add3_u32 v4, v9, v4, v5
	s_cbranch_scc0 .LBB25_40
; %bb.41:                               ;   in Loop: Header=BB25_9 Depth=1
	s_mov_b32 s4, s67
	s_andn2_b64 vcc, exec, s[52:53]
	s_cbranch_vccz .LBB25_45
	s_branch .LBB25_47
.LBB25_42:                              ;   in Loop: Header=BB25_9 Depth=1
                                        ; implicit-def: $vgpr4
	s_branch .LBB25_48
.LBB25_43:                              ;   in Loop: Header=BB25_9 Depth=1
	v_mov_b32_e32 v4, 0
	s_branch .LBB25_47
.LBB25_44:                              ;   in Loop: Header=BB25_9 Depth=1
	v_mov_b32_e32 v3, v8
	s_andn2_b64 vcc, exec, s[52:53]
	s_cbranch_vccnz .LBB25_47
.LBB25_45:                              ;   in Loop: Header=BB25_9 Depth=1
	s_lshl_b32 s2, s4, 2
	s_add_u32 s2, s44, s2
	s_addc_u32 s3, s45, 0
	s_mul_i32 s4, s4, 12
	s_add_u32 s4, s34, s4
	s_addc_u32 s5, s35, 0
	s_mov_b32 s6, s66
.LBB25_46:                              ;   Parent Loop BB25_9 Depth=1
                                        ; =>  This Inner Loop Header: Depth=2
	s_load_dwordx2 s[16:17], s[4:5], 0x4
	s_load_dword s7, s[4:5], 0xc
	s_load_dword s18, s[2:3], 0x0
	s_add_u32 s4, s4, 12
	s_addc_u32 s5, s5, 0
	s_waitcnt lgkmcnt(0)
	v_mul_hi_u32 v5, s17, v3
	v_add_u32_e32 v5, v3, v5
	v_lshrrev_b32_e32 v5, s7, v5
	s_add_u32 s2, s2, 4
	v_mul_lo_u32 v9, v5, s16
	s_addc_u32 s3, s3, 0
	s_add_i32 s6, s6, -1
	v_sub_u32_e32 v9, v3, v9
	s_cmp_lg_u32 s6, 0
	v_mov_b32_e32 v3, v5
	v_mad_u64_u32 v[4:5], s[16:17], v9, s18, v[4:5]
	s_cbranch_scc1 .LBB25_46
.LBB25_47:                              ;   in Loop: Header=BB25_9 Depth=1
	s_cbranch_execnz .LBB25_50
.LBB25_48:                              ;   in Loop: Header=BB25_9 Depth=1
	v_mul_hi_u32 v3, v8, s10
	v_add_u32_e32 v3, v3, v8
	v_lshrrev_b32_e32 v3, s11, v3
	v_mul_lo_u32 v4, v3, s9
	v_sub_u32_e32 v4, v8, v4
	s_andn2_b64 vcc, exec, s[48:49]
	v_mul_lo_u32 v4, v4, s46
	s_cbranch_vccnz .LBB25_50
; %bb.49:                               ;   in Loop: Header=BB25_9 Depth=1
	v_mul_hi_u32 v5, s13, v3
	v_add_u32_e32 v5, v3, v5
	v_lshrrev_b32_e32 v5, s14, v5
	v_mul_lo_u32 v5, v5, s12
	v_sub_u32_e32 v3, v3, v5
	v_mad_u64_u32 v[4:5], s[2:3], v3, s47, v[4:5]
.LBB25_50:                              ;   in Loop: Header=BB25_9 Depth=1
	v_lshrrev_b32_e32 v3, 11, v7
	v_cvt_f64_u32_e32 v[8:9], v3
	v_ldexp_f64 v[8:9], v[8:9], 32
	v_cvt_f64_u32_e32 v[6:7], v6
	v_add_f64 v[6:7], v[8:9], v[6:7]
	v_mov_b32_e32 v8, 0
	v_mov_b32_e32 v9, 0x3ca00000
	v_fmac_f64_e32 v[8:9], 0x3ca00000, v[6:7]
	v_cvt_f32_f64_e32 v3, v[8:9]
	v_cmp_gt_f32_e32 vcc, s68, v3
	v_cndmask_b32_e32 v5, 1.0, v39, vcc
	v_mul_f32_e32 v3, v3, v5
	v_log_f32_e32 v3, v3
	v_mul_f32_e32 v5, 0x3f317217, v3
	v_fma_f32 v6, v3, s8, -v5
	v_fmac_f32_e32 v6, 0x3377d1cf, v3
	v_add_f32_e32 v5, v5, v6
	v_cmp_lt_f32_e64 s[2:3], |v3|, s15
	v_cndmask_b32_e64 v3, v3, v5, s[2:3]
	v_cndmask_b32_e32 v5, 0, v40, vcc
	v_sub_f32_e32 v3, v3, v5
	v_div_scale_f32 v5, s[2:3], v37, v37, v3
	v_rcp_f32_e32 v6, v5
	v_fma_f32 v7, -v5, v6, 1.0
	v_fmac_f32_e32 v6, v7, v6
	v_div_scale_f32 v7, vcc, v3, v37, v3
	v_mul_f32_e32 v8, v7, v6
	v_fma_f32 v9, -v5, v8, v7
	v_fmac_f32_e32 v8, v9, v6
	v_fma_f32 v5, -v5, v8, v7
	v_div_fmas_f32 v5, v5, v6, v8
	v_div_fixup_f32 v3, v5, v37, v3
	v_ceil_f32_e32 v3, v3
	global_store_dword v4, v3, s[28:29]
.LBB25_51:                              ;   in Loop: Header=BB25_9 Depth=1
	s_or_b64 exec, exec, s[54:55]
	v_mov_b32_e32 v3, s63
	v_add_co_u32_e32 v4, vcc, s62, v12
	v_addc_co_u32_e32 v5, vcc, v13, v3, vcc
	v_cmp_gt_i64_e32 vcc, s[24:25], v[4:5]
	s_and_saveexec_b64 s[2:3], vcc
	s_cbranch_execz .LBB25_67
; %bb.52:                               ;   in Loop: Header=BB25_9 Depth=1
	s_and_b64 vcc, exec, s[0:1]
	s_cbranch_vccnz .LBB25_58
; %bb.53:                               ;   in Loop: Header=BB25_9 Depth=1
	s_andn2_b64 vcc, exec, s[42:43]
	s_cbranch_vccnz .LBB25_59
; %bb.54:                               ;   in Loop: Header=BB25_9 Depth=1
	s_mov_b32 s6, 0
	s_andn2_b64 vcc, exec, s[30:31]
	v_mov_b32_e32 v6, 0
	s_cbranch_vccnz .LBB25_60
; %bb.55:                               ;   in Loop: Header=BB25_9 Depth=1
	s_mov_b32 s69, 0
	v_mov_b32_e32 v6, 0
	s_mov_b64 s[54:55], s[34:35]
	s_mov_b64 s[56:57], s[44:45]
	v_mov_b32_e32 v3, v4
.LBB25_56:                              ;   Parent Loop BB25_9 Depth=1
                                        ; =>  This Inner Loop Header: Depth=2
	s_load_dwordx8 s[16:23], s[54:55], 0x4
	s_load_dwordx4 s[4:7], s[54:55], 0x24
	s_load_dwordx4 s[36:39], s[56:57], 0x0
	s_add_u32 s54, s54, 48
	s_addc_u32 s55, s55, 0
	s_waitcnt lgkmcnt(0)
	v_mul_hi_u32 v5, s17, v3
	v_add_u32_e32 v5, v3, v5
	v_lshrrev_b32_e32 v5, s18, v5
	v_mul_lo_u32 v7, v5, s16
	v_mul_hi_u32 v8, s20, v5
	v_sub_u32_e32 v3, v3, v7
	v_add_u32_e32 v7, v5, v8
	v_lshrrev_b32_e32 v7, s21, v7
	v_mul_lo_u32 v8, v7, s19
	v_mul_hi_u32 v9, s23, v7
	v_sub_u32_e32 v5, v5, v8
	v_add_u32_e32 v8, v7, v9
	v_mul_lo_u32 v3, v3, s36
	v_mul_lo_u32 v5, v5, s37
	v_lshrrev_b32_e32 v8, s4, v8
	v_add3_u32 v5, v3, v6, v5
	v_mul_lo_u32 v3, v8, s22
	v_mul_hi_u32 v6, s6, v8
	v_sub_u32_e32 v3, v7, v3
	v_add_u32_e32 v6, v8, v6
	v_mul_lo_u32 v7, v3, s38
	v_lshrrev_b32_e32 v3, s7, v6
	s_add_i32 s69, s69, 4
	v_mul_lo_u32 v6, v3, s5
	s_add_u32 s56, s56, 16
	v_sub_u32_e32 v6, v8, v6
	s_addc_u32 s57, s57, 0
	v_mul_lo_u32 v6, v6, s39
	s_cmp_eq_u32 s67, s69
	v_add3_u32 v6, v7, v5, v6
	s_cbranch_scc0 .LBB25_56
; %bb.57:                               ;   in Loop: Header=BB25_9 Depth=1
	s_mov_b32 s6, s67
	s_andn2_b64 vcc, exec, s[52:53]
	s_cbranch_vccz .LBB25_61
	s_branch .LBB25_63
.LBB25_58:                              ;   in Loop: Header=BB25_9 Depth=1
                                        ; implicit-def: $vgpr6
	s_branch .LBB25_64
.LBB25_59:                              ;   in Loop: Header=BB25_9 Depth=1
	v_mov_b32_e32 v6, 0
	s_branch .LBB25_63
.LBB25_60:                              ;   in Loop: Header=BB25_9 Depth=1
	v_mov_b32_e32 v3, v4
	s_andn2_b64 vcc, exec, s[52:53]
	s_cbranch_vccnz .LBB25_63
.LBB25_61:                              ;   in Loop: Header=BB25_9 Depth=1
	s_lshl_b32 s4, s6, 2
	s_add_u32 s4, s44, s4
	s_addc_u32 s5, s45, 0
	s_mul_i32 s6, s6, 12
	s_add_u32 s6, s34, s6
	s_addc_u32 s7, s35, 0
	s_mov_b32 s16, s66
.LBB25_62:                              ;   Parent Loop BB25_9 Depth=1
                                        ; =>  This Inner Loop Header: Depth=2
	s_load_dwordx2 s[18:19], s[6:7], 0x4
	s_load_dword s17, s[6:7], 0xc
	s_load_dword s20, s[4:5], 0x0
	s_add_u32 s6, s6, 12
	s_addc_u32 s7, s7, 0
	s_waitcnt lgkmcnt(0)
	v_mul_hi_u32 v5, s19, v3
	v_add_u32_e32 v5, v3, v5
	v_lshrrev_b32_e32 v5, s17, v5
	s_add_u32 s4, s4, 4
	v_mul_lo_u32 v7, v5, s18
	s_addc_u32 s5, s5, 0
	s_add_i32 s16, s16, -1
	v_sub_u32_e32 v7, v3, v7
	s_cmp_lg_u32 s16, 0
	v_mov_b32_e32 v3, v5
	v_mad_u64_u32 v[6:7], s[18:19], v7, s20, v[6:7]
	s_cbranch_scc1 .LBB25_62
.LBB25_63:                              ;   in Loop: Header=BB25_9 Depth=1
	s_cbranch_execnz .LBB25_66
.LBB25_64:                              ;   in Loop: Header=BB25_9 Depth=1
	v_mul_hi_u32 v3, v4, s10
	v_add_u32_e32 v3, v3, v4
	v_lshrrev_b32_e32 v3, s11, v3
	v_mul_lo_u32 v5, v3, s9
	v_sub_u32_e32 v4, v4, v5
	s_andn2_b64 vcc, exec, s[48:49]
	v_mul_lo_u32 v6, v4, s46
	s_cbranch_vccnz .LBB25_66
; %bb.65:                               ;   in Loop: Header=BB25_9 Depth=1
	v_mul_hi_u32 v4, s13, v3
	v_add_u32_e32 v4, v3, v4
	v_lshrrev_b32_e32 v4, s14, v4
	v_mul_lo_u32 v4, v4, s12
	v_sub_u32_e32 v3, v3, v4
	v_mad_u64_u32 v[6:7], s[4:5], v3, s47, v[6:7]
.LBB25_66:                              ;   in Loop: Header=BB25_9 Depth=1
	global_store_dword v6, v38, s[28:29]
.LBB25_67:                              ;   in Loop: Header=BB25_9 Depth=1
	s_or_b64 exec, exec, s[2:3]
	v_mov_b32_e32 v3, s65
	v_add_co_u32_e32 v4, vcc, s64, v12
	v_addc_co_u32_e32 v5, vcc, v13, v3, vcc
	v_cmp_gt_i64_e32 vcc, s[24:25], v[4:5]
	s_and_saveexec_b64 s[36:37], vcc
	s_cbranch_execz .LBB25_8
; %bb.68:                               ;   in Loop: Header=BB25_9 Depth=1
	s_and_b64 vcc, exec, s[0:1]
	s_cbranch_vccnz .LBB25_74
; %bb.69:                               ;   in Loop: Header=BB25_9 Depth=1
	s_andn2_b64 vcc, exec, s[42:43]
	s_cbranch_vccnz .LBB25_75
; %bb.70:                               ;   in Loop: Header=BB25_9 Depth=1
	s_mov_b32 s2, 0
	s_andn2_b64 vcc, exec, s[30:31]
	v_mov_b32_e32 v6, 0
	s_cbranch_vccnz .LBB25_76
; %bb.71:                               ;   in Loop: Header=BB25_9 Depth=1
	s_mov_b32 s56, 0
	v_mov_b32_e32 v6, 0
	s_mov_b64 s[38:39], s[34:35]
	s_mov_b64 s[54:55], s[44:45]
	v_mov_b32_e32 v3, v4
.LBB25_72:                              ;   Parent Loop BB25_9 Depth=1
                                        ; =>  This Inner Loop Header: Depth=2
	s_load_dwordx8 s[0:7], s[38:39], 0x4
	s_load_dwordx4 s[16:19], s[38:39], 0x24
	s_load_dwordx4 s[20:23], s[54:55], 0x0
	s_add_u32 s38, s38, 48
	s_addc_u32 s39, s39, 0
	s_waitcnt lgkmcnt(0)
	v_mul_hi_u32 v5, s1, v3
	v_add_u32_e32 v5, v3, v5
	v_lshrrev_b32_e32 v5, s2, v5
	v_mul_lo_u32 v7, v5, s0
	v_mul_hi_u32 v8, s4, v5
	v_sub_u32_e32 v3, v3, v7
	v_add_u32_e32 v7, v5, v8
	v_lshrrev_b32_e32 v7, s5, v7
	v_mul_lo_u32 v8, v7, s3
	v_mul_hi_u32 v9, s7, v7
	v_sub_u32_e32 v5, v5, v8
	v_add_u32_e32 v8, v7, v9
	v_mul_lo_u32 v3, v3, s20
	v_mul_lo_u32 v5, v5, s21
	v_lshrrev_b32_e32 v8, s16, v8
	v_add3_u32 v5, v3, v6, v5
	v_mul_lo_u32 v3, v8, s6
	v_mul_hi_u32 v6, s18, v8
	v_sub_u32_e32 v3, v7, v3
	v_add_u32_e32 v6, v8, v6
	v_mul_lo_u32 v7, v3, s22
	v_lshrrev_b32_e32 v3, s19, v6
	s_add_i32 s56, s56, 4
	v_mul_lo_u32 v6, v3, s17
	s_add_u32 s54, s54, 16
	v_sub_u32_e32 v6, v8, v6
	s_addc_u32 s55, s55, 0
	v_mul_lo_u32 v6, v6, s23
	s_cmp_eq_u32 s67, s56
	v_add3_u32 v6, v7, v5, v6
	s_cbranch_scc0 .LBB25_72
; %bb.73:                               ;   in Loop: Header=BB25_9 Depth=1
	s_mov_b32 s2, s67
	s_andn2_b64 vcc, exec, s[52:53]
	s_cbranch_vccz .LBB25_77
	s_branch .LBB25_79
.LBB25_74:                              ;   in Loop: Header=BB25_9 Depth=1
                                        ; implicit-def: $vgpr6
	s_branch .LBB25_80
.LBB25_75:                              ;   in Loop: Header=BB25_9 Depth=1
	v_mov_b32_e32 v6, 0
	s_branch .LBB25_79
.LBB25_76:                              ;   in Loop: Header=BB25_9 Depth=1
	v_mov_b32_e32 v3, v4
	s_andn2_b64 vcc, exec, s[52:53]
	s_cbranch_vccnz .LBB25_79
.LBB25_77:                              ;   in Loop: Header=BB25_9 Depth=1
	s_lshl_b32 s0, s2, 2
	s_add_u32 s0, s44, s0
	s_addc_u32 s1, s45, 0
	s_mul_i32 s2, s2, 12
	s_add_u32 s2, s34, s2
	s_addc_u32 s3, s35, 0
	s_mov_b32 s4, s66
.LBB25_78:                              ;   Parent Loop BB25_9 Depth=1
                                        ; =>  This Inner Loop Header: Depth=2
	s_load_dwordx2 s[6:7], s[2:3], 0x4
	s_load_dword s5, s[2:3], 0xc
	s_load_dword s16, s[0:1], 0x0
	s_add_u32 s2, s2, 12
	s_addc_u32 s3, s3, 0
	s_waitcnt lgkmcnt(0)
	v_mul_hi_u32 v5, s7, v3
	v_add_u32_e32 v5, v3, v5
	v_lshrrev_b32_e32 v5, s5, v5
	s_add_u32 s0, s0, 4
	v_mul_lo_u32 v7, v5, s6
	s_addc_u32 s1, s1, 0
	s_add_i32 s4, s4, -1
	v_sub_u32_e32 v7, v3, v7
	s_cmp_lg_u32 s4, 0
	v_mov_b32_e32 v3, v5
	v_mad_u64_u32 v[6:7], s[6:7], v7, s16, v[6:7]
	s_cbranch_scc1 .LBB25_78
.LBB25_79:                              ;   in Loop: Header=BB25_9 Depth=1
	s_cbranch_execnz .LBB25_7
.LBB25_80:                              ;   in Loop: Header=BB25_9 Depth=1
	v_mul_hi_u32 v3, v4, s10
	v_add_u32_e32 v3, v3, v4
	v_lshrrev_b32_e32 v3, s11, v3
	v_mul_lo_u32 v5, v3, s9
	v_sub_u32_e32 v4, v4, v5
	s_andn2_b64 vcc, exec, s[48:49]
	v_mul_lo_u32 v6, v4, s46
	s_cbranch_vccnz .LBB25_7
; %bb.81:                               ;   in Loop: Header=BB25_9 Depth=1
	v_mul_hi_u32 v4, s13, v3
	v_add_u32_e32 v4, v3, v4
	v_lshrrev_b32_e32 v4, s14, v4
	v_mul_lo_u32 v4, v4, s12
	v_sub_u32_e32 v3, v3, v4
	v_mad_u64_u32 v[6:7], s[0:1], v3, s47, v[6:7]
	s_branch .LBB25_7
.LBB25_82:
	s_endpgm
.LBB25_83:
                                        ; implicit-def: $sgpr2_sgpr3
	s_andn2_b64 vcc, exec, s[0:1]
	s_cbranch_vccz .LBB25_4
	s_branch .LBB25_5
	.section	.rodata,"a",@progbits
	.p2align	6, 0x0
	.amdhsa_kernel _ZN2at6native12_GLOBAL__N_143distribution_elementwise_grid_stride_kernelIfLi4EZNS0_9templates4cuda21uniform_and_transformIffPNS_17CUDAGeneratorImplEZZZNS4_16geometric_kernelIS7_EEvRNS_18TensorIteratorBaseEdT_ENKUlvE_clEvENKUlvE5_clEvEUlfE_EEvSA_T1_T2_EUlP25hiprandStatePhilox4_32_10E_ZNS1_27distribution_nullary_kernelIff15HIP_vector_typeIdLj2EES7_SJ_SE_EEvSA_SG_RKT3_T4_EUlifE0_EEvlNS_15PhiloxCudaStateESF_SG_
		.amdhsa_group_segment_fixed_size 0
		.amdhsa_private_segment_fixed_size 0
		.amdhsa_kernarg_size 584
		.amdhsa_user_sgpr_count 6
		.amdhsa_user_sgpr_private_segment_buffer 1
		.amdhsa_user_sgpr_dispatch_ptr 0
		.amdhsa_user_sgpr_queue_ptr 0
		.amdhsa_user_sgpr_kernarg_segment_ptr 1
		.amdhsa_user_sgpr_dispatch_id 0
		.amdhsa_user_sgpr_flat_scratch_init 0
		.amdhsa_user_sgpr_kernarg_preload_length 0
		.amdhsa_user_sgpr_kernarg_preload_offset 0
		.amdhsa_user_sgpr_private_segment_size 0
		.amdhsa_uses_dynamic_stack 0
		.amdhsa_system_sgpr_private_segment_wavefront_offset 0
		.amdhsa_system_sgpr_workgroup_id_x 1
		.amdhsa_system_sgpr_workgroup_id_y 0
		.amdhsa_system_sgpr_workgroup_id_z 0
		.amdhsa_system_sgpr_workgroup_info 0
		.amdhsa_system_vgpr_workitem_id 0
		.amdhsa_next_free_vgpr 46
		.amdhsa_next_free_sgpr 70
		.amdhsa_accum_offset 48
		.amdhsa_reserve_vcc 1
		.amdhsa_reserve_flat_scratch 0
		.amdhsa_float_round_mode_32 0
		.amdhsa_float_round_mode_16_64 0
		.amdhsa_float_denorm_mode_32 3
		.amdhsa_float_denorm_mode_16_64 3
		.amdhsa_dx10_clamp 1
		.amdhsa_ieee_mode 1
		.amdhsa_fp16_overflow 0
		.amdhsa_tg_split 0
		.amdhsa_exception_fp_ieee_invalid_op 0
		.amdhsa_exception_fp_denorm_src 0
		.amdhsa_exception_fp_ieee_div_zero 0
		.amdhsa_exception_fp_ieee_overflow 0
		.amdhsa_exception_fp_ieee_underflow 0
		.amdhsa_exception_fp_ieee_inexact 0
		.amdhsa_exception_int_div_zero 0
	.end_amdhsa_kernel
	.section	.text._ZN2at6native12_GLOBAL__N_143distribution_elementwise_grid_stride_kernelIfLi4EZNS0_9templates4cuda21uniform_and_transformIffPNS_17CUDAGeneratorImplEZZZNS4_16geometric_kernelIS7_EEvRNS_18TensorIteratorBaseEdT_ENKUlvE_clEvENKUlvE5_clEvEUlfE_EEvSA_T1_T2_EUlP25hiprandStatePhilox4_32_10E_ZNS1_27distribution_nullary_kernelIff15HIP_vector_typeIdLj2EES7_SJ_SE_EEvSA_SG_RKT3_T4_EUlifE0_EEvlNS_15PhiloxCudaStateESF_SG_,"axG",@progbits,_ZN2at6native12_GLOBAL__N_143distribution_elementwise_grid_stride_kernelIfLi4EZNS0_9templates4cuda21uniform_and_transformIffPNS_17CUDAGeneratorImplEZZZNS4_16geometric_kernelIS7_EEvRNS_18TensorIteratorBaseEdT_ENKUlvE_clEvENKUlvE5_clEvEUlfE_EEvSA_T1_T2_EUlP25hiprandStatePhilox4_32_10E_ZNS1_27distribution_nullary_kernelIff15HIP_vector_typeIdLj2EES7_SJ_SE_EEvSA_SG_RKT3_T4_EUlifE0_EEvlNS_15PhiloxCudaStateESF_SG_,comdat
.Lfunc_end25:
	.size	_ZN2at6native12_GLOBAL__N_143distribution_elementwise_grid_stride_kernelIfLi4EZNS0_9templates4cuda21uniform_and_transformIffPNS_17CUDAGeneratorImplEZZZNS4_16geometric_kernelIS7_EEvRNS_18TensorIteratorBaseEdT_ENKUlvE_clEvENKUlvE5_clEvEUlfE_EEvSA_T1_T2_EUlP25hiprandStatePhilox4_32_10E_ZNS1_27distribution_nullary_kernelIff15HIP_vector_typeIdLj2EES7_SJ_SE_EEvSA_SG_RKT3_T4_EUlifE0_EEvlNS_15PhiloxCudaStateESF_SG_, .Lfunc_end25-_ZN2at6native12_GLOBAL__N_143distribution_elementwise_grid_stride_kernelIfLi4EZNS0_9templates4cuda21uniform_and_transformIffPNS_17CUDAGeneratorImplEZZZNS4_16geometric_kernelIS7_EEvRNS_18TensorIteratorBaseEdT_ENKUlvE_clEvENKUlvE5_clEvEUlfE_EEvSA_T1_T2_EUlP25hiprandStatePhilox4_32_10E_ZNS1_27distribution_nullary_kernelIff15HIP_vector_typeIdLj2EES7_SJ_SE_EEvSA_SG_RKT3_T4_EUlifE0_EEvlNS_15PhiloxCudaStateESF_SG_
                                        ; -- End function
	.section	.AMDGPU.csdata,"",@progbits
; Kernel info:
; codeLenInByte = 5420
; NumSgprs: 74
; NumVgprs: 46
; NumAgprs: 0
; TotalNumVgprs: 46
; ScratchSize: 0
; MemoryBound: 0
; FloatMode: 240
; IeeeMode: 1
; LDSByteSize: 0 bytes/workgroup (compile time only)
; SGPRBlocks: 9
; VGPRBlocks: 5
; NumSGPRsForWavesPerEU: 74
; NumVGPRsForWavesPerEU: 46
; AccumOffset: 48
; Occupancy: 8
; WaveLimiterHint : 1
; COMPUTE_PGM_RSRC2:SCRATCH_EN: 0
; COMPUTE_PGM_RSRC2:USER_SGPR: 6
; COMPUTE_PGM_RSRC2:TRAP_HANDLER: 0
; COMPUTE_PGM_RSRC2:TGID_X_EN: 1
; COMPUTE_PGM_RSRC2:TGID_Y_EN: 0
; COMPUTE_PGM_RSRC2:TGID_Z_EN: 0
; COMPUTE_PGM_RSRC2:TIDIG_COMP_CNT: 0
; COMPUTE_PGM_RSRC3_GFX90A:ACCUM_OFFSET: 11
; COMPUTE_PGM_RSRC3_GFX90A:TG_SPLIT: 0
	.section	.text._ZN2at6native12_GLOBAL__N_143distribution_elementwise_grid_stride_kernelIfLi4EZNS0_9templates4cuda21uniform_and_transformIffPNS_17CUDAGeneratorImplEZZZNS4_16geometric_kernelIS7_EEvRNS_18TensorIteratorBaseEdT_ENKUlvE_clEvENKUlvE5_clEvEUlfE_EEvSA_T1_T2_EUlP25hiprandStatePhilox4_32_10E0_ZNS1_27distribution_nullary_kernelIff15HIP_vector_typeIfLj4EES7_SJ_SE_EEvSA_SG_RKT3_T4_EUlifE_EEvlNS_15PhiloxCudaStateESF_SG_,"axG",@progbits,_ZN2at6native12_GLOBAL__N_143distribution_elementwise_grid_stride_kernelIfLi4EZNS0_9templates4cuda21uniform_and_transformIffPNS_17CUDAGeneratorImplEZZZNS4_16geometric_kernelIS7_EEvRNS_18TensorIteratorBaseEdT_ENKUlvE_clEvENKUlvE5_clEvEUlfE_EEvSA_T1_T2_EUlP25hiprandStatePhilox4_32_10E0_ZNS1_27distribution_nullary_kernelIff15HIP_vector_typeIfLj4EES7_SJ_SE_EEvSA_SG_RKT3_T4_EUlifE_EEvlNS_15PhiloxCudaStateESF_SG_,comdat
	.globl	_ZN2at6native12_GLOBAL__N_143distribution_elementwise_grid_stride_kernelIfLi4EZNS0_9templates4cuda21uniform_and_transformIffPNS_17CUDAGeneratorImplEZZZNS4_16geometric_kernelIS7_EEvRNS_18TensorIteratorBaseEdT_ENKUlvE_clEvENKUlvE5_clEvEUlfE_EEvSA_T1_T2_EUlP25hiprandStatePhilox4_32_10E0_ZNS1_27distribution_nullary_kernelIff15HIP_vector_typeIfLj4EES7_SJ_SE_EEvSA_SG_RKT3_T4_EUlifE_EEvlNS_15PhiloxCudaStateESF_SG_ ; -- Begin function _ZN2at6native12_GLOBAL__N_143distribution_elementwise_grid_stride_kernelIfLi4EZNS0_9templates4cuda21uniform_and_transformIffPNS_17CUDAGeneratorImplEZZZNS4_16geometric_kernelIS7_EEvRNS_18TensorIteratorBaseEdT_ENKUlvE_clEvENKUlvE5_clEvEUlfE_EEvSA_T1_T2_EUlP25hiprandStatePhilox4_32_10E0_ZNS1_27distribution_nullary_kernelIff15HIP_vector_typeIfLj4EES7_SJ_SE_EEvSA_SG_RKT3_T4_EUlifE_EEvlNS_15PhiloxCudaStateESF_SG_
	.p2align	8
	.type	_ZN2at6native12_GLOBAL__N_143distribution_elementwise_grid_stride_kernelIfLi4EZNS0_9templates4cuda21uniform_and_transformIffPNS_17CUDAGeneratorImplEZZZNS4_16geometric_kernelIS7_EEvRNS_18TensorIteratorBaseEdT_ENKUlvE_clEvENKUlvE5_clEvEUlfE_EEvSA_T1_T2_EUlP25hiprandStatePhilox4_32_10E0_ZNS1_27distribution_nullary_kernelIff15HIP_vector_typeIfLj4EES7_SJ_SE_EEvSA_SG_RKT3_T4_EUlifE_EEvlNS_15PhiloxCudaStateESF_SG_,@function
_ZN2at6native12_GLOBAL__N_143distribution_elementwise_grid_stride_kernelIfLi4EZNS0_9templates4cuda21uniform_and_transformIffPNS_17CUDAGeneratorImplEZZZNS4_16geometric_kernelIS7_EEvRNS_18TensorIteratorBaseEdT_ENKUlvE_clEvENKUlvE5_clEvEUlfE_EEvSA_T1_T2_EUlP25hiprandStatePhilox4_32_10E0_ZNS1_27distribution_nullary_kernelIff15HIP_vector_typeIfLj4EES7_SJ_SE_EEvSA_SG_RKT3_T4_EUlifE_EEvlNS_15PhiloxCudaStateESF_SG_: ; @_ZN2at6native12_GLOBAL__N_143distribution_elementwise_grid_stride_kernelIfLi4EZNS0_9templates4cuda21uniform_and_transformIffPNS_17CUDAGeneratorImplEZZZNS4_16geometric_kernelIS7_EEvRNS_18TensorIteratorBaseEdT_ENKUlvE_clEvENKUlvE5_clEvEUlfE_EEvSA_T1_T2_EUlP25hiprandStatePhilox4_32_10E0_ZNS1_27distribution_nullary_kernelIff15HIP_vector_typeIfLj4EES7_SJ_SE_EEvSA_SG_RKT3_T4_EUlifE_EEvlNS_15PhiloxCudaStateESF_SG_
; %bb.0:
	s_load_dword s2, s[4:5], 0x20
	s_load_dwordx2 s[0:1], s[4:5], 0x10
	s_load_dwordx4 s[8:11], s[4:5], 0x0
	s_waitcnt lgkmcnt(0)
	s_bitcmp0_b32 s2, 0
	s_mov_b32 s2, 0
	v_pk_mov_b32 v[2:3], s[0:1], s[0:1] op_sel:[0,1]
	v_pk_mov_b32 v[14:15], s[10:11], s[10:11] op_sel:[0,1]
	s_cbranch_scc1 .LBB26_2
; %bb.1:
	v_pk_mov_b32 v[2:3], s[0:1], s[0:1] op_sel:[0,1]
	flat_load_dwordx2 v[2:3], v[2:3]
	v_pk_mov_b32 v[4:5], s[10:11], s[10:11] op_sel:[0,1]
	flat_load_dwordx2 v[14:15], v[4:5]
	s_load_dwordx2 s[0:1], s[4:5], 0x18
	s_waitcnt lgkmcnt(0)
	v_mov_b32_e32 v1, s1
	s_waitcnt vmcnt(0)
	v_add_co_u32_e32 v2, vcc, s0, v2
	v_addc_co_u32_e32 v3, vcc, v3, v1, vcc
.LBB26_2:
	s_load_dword s0, s[4:5], 0x54
	s_load_dword s17, s[4:5], 0x48
	s_waitcnt lgkmcnt(0)
	s_and_b32 s7, s0, 0xffff
	s_add_u32 s10, s8, -1
	s_mul_i32 s12, s17, s7
	s_addc_u32 s3, s9, -1
	s_lshl_b32 s13, s12, 2
	s_cmp_lg_u64 s[2:3], 0
	s_mov_b64 s[0:1], -1
	s_cbranch_scc0 .LBB26_27
; %bb.3:
	v_cvt_f32_u32_e32 v1, s13
	v_cvt_f32_ubyte0_e32 v4, 0
	s_sub_u32 s2, 0, s13
	s_subb_u32 s11, 0, 0
	v_madmk_f32 v1, v4, 0x4f800000, v1
	v_rcp_f32_e32 v1, v1
	v_mul_f32_e32 v1, 0x5f7ffffc, v1
	v_mul_f32_e32 v4, 0x2f800000, v1
	v_trunc_f32_e32 v4, v4
	v_madmk_f32 v1, v4, 0xcf800000, v1
	v_cvt_u32_f32_e32 v4, v4
	v_cvt_u32_f32_e32 v1, v1
	v_readfirstlane_b32 s14, v4
	v_readfirstlane_b32 s15, v1
	s_mul_i32 s16, s2, s14
	s_mul_hi_u32 s19, s2, s15
	s_mul_i32 s18, s11, s15
	s_add_i32 s16, s19, s16
	s_add_i32 s16, s16, s18
	s_mul_i32 s20, s2, s15
	s_mul_hi_u32 s18, s15, s16
	s_mul_i32 s19, s15, s16
	s_mul_hi_u32 s15, s15, s20
	s_add_u32 s15, s15, s19
	s_addc_u32 s18, 0, s18
	s_mul_hi_u32 s21, s14, s20
	s_mul_i32 s20, s14, s20
	s_add_u32 s15, s15, s20
	s_mul_hi_u32 s19, s14, s16
	s_addc_u32 s15, s18, s21
	s_addc_u32 s18, s19, 0
	s_mul_i32 s16, s14, s16
	s_add_u32 s15, s15, s16
	s_addc_u32 s16, 0, s18
	v_add_co_u32_e32 v1, vcc, s15, v1
	s_cmp_lg_u64 vcc, 0
	s_addc_u32 s14, s14, s16
	v_readfirstlane_b32 s16, v1
	s_mul_i32 s15, s2, s14
	s_mul_hi_u32 s18, s2, s16
	s_add_i32 s15, s18, s15
	s_mul_i32 s11, s11, s16
	s_add_i32 s15, s15, s11
	s_mul_i32 s2, s2, s16
	s_mul_hi_u32 s18, s14, s2
	s_mul_i32 s19, s14, s2
	s_mul_i32 s21, s16, s15
	s_mul_hi_u32 s2, s16, s2
	s_mul_hi_u32 s20, s16, s15
	s_add_u32 s2, s2, s21
	s_addc_u32 s16, 0, s20
	s_add_u32 s2, s2, s19
	s_mul_hi_u32 s11, s14, s15
	s_addc_u32 s2, s16, s18
	s_addc_u32 s11, s11, 0
	s_mul_i32 s15, s14, s15
	s_add_u32 s2, s2, s15
	s_addc_u32 s11, 0, s11
	v_add_co_u32_e32 v1, vcc, s2, v1
	s_cmp_lg_u64 vcc, 0
	s_addc_u32 s11, s14, s11
	s_ashr_i32 s14, s3, 31
	s_add_u32 s2, s10, s14
	s_mov_b32 s15, s14
	s_addc_u32 s3, s3, s14
	s_xor_b64 s[2:3], s[2:3], s[14:15]
	v_readfirstlane_b32 s19, v1
	s_mul_i32 s18, s2, s11
	s_mul_hi_u32 s20, s2, s19
	s_mul_hi_u32 s16, s2, s11
	s_add_u32 s18, s20, s18
	s_addc_u32 s16, 0, s16
	s_mul_hi_u32 s21, s3, s19
	s_mul_i32 s19, s3, s19
	s_add_u32 s18, s18, s19
	s_mul_hi_u32 s20, s3, s11
	s_addc_u32 s16, s16, s21
	s_addc_u32 s18, s20, 0
	s_mul_i32 s11, s3, s11
	s_add_u32 s11, s16, s11
	s_addc_u32 s16, 0, s18
	s_add_u32 s18, s11, 1
	s_addc_u32 s19, s16, 0
	s_add_u32 s20, s11, 2
	s_mul_i32 s22, s13, s16
	s_mul_hi_u32 s23, s13, s11
	s_addc_u32 s21, s16, 0
	s_add_i32 s23, s23, s22
	s_mul_i32 s22, s13, s11
	v_mov_b32_e32 v1, s22
	v_sub_co_u32_e32 v1, vcc, s2, v1
	s_cmp_lg_u64 vcc, 0
	s_subb_u32 s2, s3, s23
	v_subrev_co_u32_e32 v4, vcc, s13, v1
	s_cmp_lg_u64 vcc, 0
	s_subb_u32 s3, s2, 0
	v_readfirstlane_b32 s22, v4
	s_cmp_ge_u32 s22, s13
	s_cselect_b32 s22, -1, 0
	s_cmp_eq_u32 s3, 0
	s_cselect_b32 s3, s22, -1
	s_cmp_lg_u32 s3, 0
	s_cselect_b32 s3, s21, s19
	v_readfirstlane_b32 s19, v1
	s_cselect_b32 s18, s20, s18
	s_cmp_ge_u32 s19, s13
	s_cselect_b32 s19, -1, 0
	s_cmp_eq_u32 s2, 0
	s_cselect_b32 s2, s19, -1
	s_cmp_lg_u32 s2, 0
	s_cselect_b32 s3, s3, s16
	s_cselect_b32 s2, s18, s11
	s_xor_b64 s[2:3], s[2:3], s[14:15]
	s_sub_u32 s2, s2, s14
	s_subb_u32 s3, s3, s14
	s_cbranch_execnz .LBB26_5
.LBB26_4:
	v_cvt_f32_u32_e32 v1, s13
	s_sub_i32 s0, 0, s13
	s_mov_b32 s3, 0
	v_rcp_iflag_f32_e32 v1, v1
	v_mul_f32_e32 v1, 0x4f7ffffe, v1
	v_cvt_u32_f32_e32 v1, v1
	v_readfirstlane_b32 s1, v1
	s_mul_i32 s0, s0, s1
	s_mul_hi_u32 s0, s1, s0
	s_add_i32 s1, s1, s0
	s_mul_hi_u32 s0, s10, s1
	s_mul_i32 s2, s0, s13
	s_sub_i32 s2, s10, s2
	s_add_i32 s1, s0, 1
	s_sub_i32 s10, s2, s13
	s_cmp_ge_u32 s2, s13
	s_cselect_b32 s0, s1, s0
	s_cselect_b32 s2, s10, s2
	s_add_i32 s1, s0, 1
	s_cmp_ge_u32 s2, s13
	s_cselect_b32 s2, s1, s0
.LBB26_5:
	v_mov_b32_e32 v1, 0
	v_mov_b32_e32 v4, s6
	v_mad_u64_u32 v[16:17], s[0:1], s7, v4, v[0:1]
	s_add_u32 s0, s2, 1
	s_addc_u32 s1, s3, 0
	s_mul_hi_u32 s2, s17, s7
	s_mul_i32 s1, s12, s1
	s_mul_hi_u32 s3, s12, s0
	s_add_i32 s1, s3, s1
	s_mul_i32 s2, s2, s0
	s_add_i32 s1, s1, s2
	s_mul_i32 s0, s12, s0
	s_lshl_b64 s[2:3], s[0:1], 2
	v_cmp_gt_i64_e32 vcc, s[2:3], v[16:17]
	s_and_saveexec_b64 s[0:1], vcc
	s_cbranch_execz .LBB26_26
; %bb.6:
	s_load_dwordx2 s[10:11], s[4:5], 0x30
	s_load_dword s23, s[4:5], 0x38
	s_load_dwordx2 s[0:1], s[4:5], 0x40
	s_mov_b32 s4, 0x5384540f
	v_mov_b32_e32 v4, v15
	v_add_co_u32_e32 v22, vcc, s4, v14
	s_mov_b32 s4, 0x646e171e
	v_add_co_u32_e32 v23, vcc, s4, v4
	s_mov_b32 s4, 0x1715609d
	;; [unrolled: 2-line block ×6, first 2 shown]
	v_alignbit_b32 v29, v3, v2, 2
	s_mov_b32 s15, 0xd2511f53
	v_add_co_u32_e32 v28, vcc, s4, v14
	v_mad_u64_u32 v[6:7], s[4:5], v29, s15, 0
	v_xor_b32_e32 v1, v7, v15
	v_xor_b32_e32 v1, v1, v17
	s_mov_b32 s16, 0xcd9e8d57
	v_mad_u64_u32 v[8:9], s[4:5], v1, s16, 0
	v_xor_b32_e32 v1, v28, v9
	v_mad_u64_u32 v[10:11], s[4:5], v16, s16, 0
	v_and_b32_e32 v18, 3, v2
	v_xor_b32_e32 v1, v1, v10
	v_xor_b32_e32 v2, v14, v11
	v_lshrrev_b32_e32 v30, 2, v3
	v_mad_u64_u32 v[12:13], s[4:5], v1, s15, 0
	v_xor_b32_e32 v2, v2, v30
	v_xor_b32_e32 v1, v27, v13
	v_mad_u64_u32 v[2:3], s[4:5], v2, s15, 0
	v_xor_b32_e32 v1, v1, v2
	v_mad_u64_u32 v[10:11], s[4:5], v1, s16, 0
	s_mov_b32 s4, 0xbb67ae85
	v_add_co_u32_e32 v31, vcc, s4, v4
	v_xor_b32_e32 v2, v31, v3
	v_xor_b32_e32 v2, v2, v6
	v_xor_b32_e32 v1, v26, v11
	v_mad_u64_u32 v[2:3], s[4:5], v2, s16, 0
	v_xor_b32_e32 v1, v1, v2
	v_mad_u64_u32 v[6:7], s[4:5], v1, s15, 0
	s_mov_b32 s4, 0x3c6ef372
	v_add_co_u32_e32 v32, vcc, s4, v14
	v_xor_b32_e32 v2, v32, v3
	;; [unrolled: 8-line block ×6, first 2 shown]
	v_add_co_u32_e32 v21, vcc, 0xdb3d7428, v4
	v_xor_b32_e32 v2, v2, v8
	v_xor_b32_e32 v1, v21, v7
	v_mad_u64_u32 v[2:3], s[4:5], v2, s15, 0
	v_xor_b32_e32 v1, v1, v2
	v_mad_u64_u32 v[8:9], s[4:5], v1, s16, 0
	s_mov_b32 s4, 0x1fd5c5a3
	v_add_co_u32_e32 v37, vcc, s4, v4
	v_xor_b32_e32 v1, v37, v3
	v_xor_b32_e32 v1, v1, v12
	v_mad_u64_u32 v[2:3], s[4:5], v1, s16, 0
	s_mov_b32 s4, 0xf1bbcdc8
	v_add_u32_e32 v19, 0x8ff34781, v14
	v_xor_b32_e32 v1, v9, v2
	v_add_co_u32_e32 v38, vcc, s4, v14
	v_xor_b32_e32 v2, v19, v1
	v_xor_b32_e32 v1, v38, v3
	;; [unrolled: 1-line block ×3, first 2 shown]
	v_mad_u64_u32 v[10:11], s[4:5], v1, s15, 0
	v_add_u32_e32 v20, 0x96a522ad, v15
	v_xor_b32_e32 v1, v11, v6
	v_xor_b32_e32 v4, v20, v1
	s_waitcnt lgkmcnt(0)
	v_cvt_f32_f64_e32 v1, s[0:1]
	v_mov_b32_e32 v3, v8
	v_sub_f32_e32 v8, 1.0, v1
	v_add_f32_e32 v6, -1.0, v8
	v_sub_f32_e32 v7, v6, v8
	v_add_f32_e32 v7, 1.0, v7
	v_sub_f32_e64 v6, -v1, v6
	v_mov_b32_e32 v5, v10
	v_add_f32_e32 v9, v6, v7
	v_frexp_mant_f32_e32 v10, v8
	s_mov_b32 s0, 0x3f2aaaab
	v_cvt_f64_f32_e32 v[6:7], v8
	v_frexp_exp_i32_f64_e32 v6, v[6:7]
	v_cmp_gt_f32_e32 vcc, s0, v10
	v_subbrev_co_u32_e32 v6, vcc, 0, v6, vcc
	v_sub_u32_e32 v7, 0, v6
	v_ldexp_f32 v8, v8, v7
	v_ldexp_f32 v7, v9, v7
	v_add_f32_e32 v9, -1.0, v8
	v_add_f32_e32 v12, 1.0, v8
	v_add_f32_e32 v10, 1.0, v9
	v_add_f32_e32 v13, -1.0, v12
	v_sub_f32_e32 v10, v8, v10
	v_sub_f32_e32 v8, v8, v13
	v_add_f32_e32 v10, v7, v10
	v_add_f32_e32 v7, v7, v8
	v_add_f32_e32 v8, v12, v7
	v_rcp_f32_e32 v13, v8
	v_add_f32_e32 v11, v9, v10
	v_sub_f32_e32 v9, v11, v9
	v_sub_f32_e32 v9, v10, v9
	;; [unrolled: 1-line block ×4, first 2 shown]
	v_mul_f32_e32 v10, v11, v13
	v_mul_f32_e32 v12, v8, v10
	v_fma_f32 v39, v10, v8, -v12
	v_fmac_f32_e32 v39, v10, v7
	v_add_f32_e32 v40, v12, v39
	v_sub_f32_e32 v41, v11, v40
	v_sub_f32_e32 v11, v11, v41
	;; [unrolled: 1-line block ×4, first 2 shown]
	v_add_f32_e32 v9, v9, v11
	v_sub_f32_e32 v11, v12, v39
	v_add_f32_e32 v9, v11, v9
	v_add_f32_e32 v11, v41, v9
	v_mul_f32_e32 v12, v13, v11
	v_mul_f32_e32 v39, v8, v12
	v_fma_f32 v8, v12, v8, -v39
	v_fmac_f32_e32 v8, v12, v7
	v_sub_f32_e32 v7, v41, v11
	v_add_f32_e32 v7, v9, v7
	v_add_f32_e32 v9, v39, v8
	v_sub_f32_e32 v40, v11, v9
	v_sub_f32_e32 v11, v11, v40
	;; [unrolled: 1-line block ×4, first 2 shown]
	v_add_f32_e32 v7, v7, v9
	v_sub_f32_e32 v8, v39, v8
	v_add_f32_e32 v7, v8, v7
	v_add_f32_e32 v8, v10, v12
	;; [unrolled: 1-line block ×3, first 2 shown]
	v_sub_f32_e32 v9, v8, v10
	v_mul_f32_e32 v7, v13, v7
	v_sub_f32_e32 v9, v12, v9
	v_add_f32_e32 v7, v9, v7
	v_cvt_f32_i32_e32 v6, v6
	v_add_f32_e32 v9, v8, v7
	v_mul_f32_e32 v10, v9, v9
	v_mov_b32_e32 v11, 0x3ecc95a3
	v_fmac_f32_e32 v11, 0x3e9b6dac, v10
	v_mov_b32_e32 v12, 0x3f2aaada
	v_fmac_f32_e32 v12, v10, v11
	s_mov_b32 s0, 0x3f317218
	v_mul_f32_e32 v11, 0x3f317218, v6
	v_fma_f32 v13, v6, s0, -v11
	v_fmac_f32_e32 v13, 0xb102e308, v6
	v_sub_f32_e32 v6, v9, v8
	v_sub_f32_e32 v6, v7, v6
	v_add_f32_e32 v7, v11, v13
	v_sub_f32_e32 v8, v7, v11
	v_ldexp_f32 v11, v9, 1
	v_mul_f32_e32 v9, v9, v10
	v_mul_f32_e32 v9, v9, v12
	v_add_f32_e32 v10, v11, v9
	v_sub_f32_e32 v11, v10, v11
	v_ldexp_f32 v6, v6, 1
	v_sub_f32_e32 v9, v9, v11
	v_add_f32_e32 v6, v6, v9
	v_add_f32_e32 v9, v10, v6
	v_sub_f32_e32 v10, v9, v10
	v_sub_f32_e32 v6, v6, v10
	v_add_f32_e32 v10, v7, v9
	v_sub_f32_e32 v11, v10, v7
	v_sub_f32_e32 v12, v10, v11
	;; [unrolled: 1-line block ×5, first 2 shown]
	v_add_f32_e32 v7, v9, v7
	v_add_f32_e32 v9, v8, v6
	v_sub_f32_e32 v11, v9, v8
	v_sub_f32_e32 v12, v9, v11
	;; [unrolled: 1-line block ×4, first 2 shown]
	v_add_f32_e32 v7, v9, v7
	v_add_f32_e32 v6, v6, v8
	;; [unrolled: 1-line block ×3, first 2 shown]
	v_sub_f32_e32 v9, v8, v10
	v_sub_f32_e32 v7, v7, v9
	v_add_f32_e32 v6, v6, v7
	s_mov_b32 s0, 0xff800000
	v_add_f32_e32 v6, v8, v6
	v_cmp_eq_f32_e32 vcc, s0, v1
	v_cndmask_b32_e64 v6, v6, -v1, vcc
	v_mov_b32_e32 v7, 0x7fc00000
	v_cmp_nlt_f32_e32 vcc, 1.0, v1
	v_cndmask_b32_e32 v6, v7, v6, vcc
	v_mov_b32_e32 v7, 0xff800000
	v_cmp_neq_f32_e32 vcc, 1.0, v1
	s_mov_b32 s0, 0x33800000
	v_cndmask_b32_e32 v6, v7, v6, vcc
	v_cmp_lt_f32_e64 s[0:1], |v1|, s0
	v_cndmask_b32_e64 v39, v6, -v1, s[0:1]
	s_mul_i32 s0, s6, s7
	v_add_u32_e32 v1, s0, v0
	s_mul_i32 s0, s17, s23
	s_mul_i32 s0, s0, s7
	s_lshl_b32 s22, s0, 2
	s_mul_i32 s0, s17, 3
	s_add_i32 s0, s6, s0
	s_mul_i32 s0, s0, s7
	v_mul_lo_u32 v40, s23, v1
	v_add_u32_e32 v1, s0, v0
	s_lshl_b32 s0, s17, 1
	s_add_i32 s0, s6, s0
	s_mul_i32 s0, s0, s7
	v_mul_lo_u32 v41, s23, v1
	v_add_u32_e32 v1, s0, v0
	s_add_i32 s0, s6, s17
	s_mul_i32 s0, s0, s7
	s_mov_b32 s14, 0
	v_add_u32_e32 v0, s0, v0
	s_lshl_b32 s18, s12, 1
	s_mov_b32 s19, s14
	s_mul_i32 s20, s12, 3
	s_mov_b32 s21, s14
	v_mul_lo_u32 v42, s23, v1
	v_mul_lo_u32 v43, s23, v0
	s_mov_b64 s[4:5], 0
	s_mov_b32 s17, 0x800000
	s_mov_b32 s23, 0x3f317217
	;; [unrolled: 1-line block ×3, first 2 shown]
	v_mov_b32_e32 v44, 0x4f800000
	v_mov_b32_e32 v45, 0x41b17218
	s_mov_b32 s25, s14
	v_mov_b32_e32 v46, v16
	v_mov_b32_e32 v47, v17
	s_branch .LBB26_8
.LBB26_7:                               ;   in Loop: Header=BB26_8 Depth=1
	s_or_b64 exec, exec, s[6:7]
	v_add_co_u32_e32 v16, vcc, s13, v16
	v_addc_co_u32_e32 v17, vcc, 0, v17, vcc
	v_mov_b32_e32 v9, v0
	s_add_i32 s25, s25, s22
	v_cmp_le_i64_e32 vcc, s[2:3], v[16:17]
	v_pk_mov_b32 v[2:3], v[6:7], v[6:7] op_sel:[0,1]
	s_or_b64 s[4:5], vcc, s[4:5]
	v_pk_mov_b32 v[4:5], v[8:9], v[8:9] op_sel:[0,1]
	s_barrier
	s_andn2_b64 exec, exec, s[4:5]
	s_cbranch_execz .LBB26_26
.LBB26_8:                               ; =>This Inner Loop Header: Depth=1
	v_add_co_u32_e32 v29, vcc, 1, v29
	v_cndmask_b32_e64 v0, 0, 1, vcc
	v_addc_co_u32_e32 v30, vcc, 0, v30, vcc
	v_cmp_eq_u32_e32 vcc, 0, v30
	v_cndmask_b32_e32 v0, 0, v0, vcc
	v_add_u32_e32 v46, v0, v46
	v_cmp_eq_u32_e32 vcc, 0, v46
	v_cndmask_b32_e32 v0, 0, v0, vcc
	v_add_u32_e32 v47, v0, v47
	v_mad_u64_u32 v[0:1], s[0:1], v29, s15, 0
	v_mad_u64_u32 v[6:7], s[0:1], v46, s16, 0
	v_xor_b32_e32 v1, v1, v15
	v_xor_b32_e32 v7, v7, v14
	v_xor_b32_e32 v1, v47, v1
	v_xor_b32_e32 v7, v30, v7
	v_mad_u64_u32 v[10:11], s[0:1], v1, s16, 0
	v_mad_u64_u32 v[8:9], s[0:1], v7, s15, 0
	v_xor_b32_e32 v1, v28, v11
	v_xor_b32_e32 v1, v1, v6
	v_xor_b32_e32 v6, v31, v9
	v_xor_b32_e32 v6, v6, v0
	;; [unrolled: 6-line block ×10, first 2 shown]
	v_mov_b32_e32 v7, v12
	v_mov_b32_e32 v8, v13
	v_cmp_lt_i32_e32 vcc, 1, v18
	s_and_saveexec_b64 s[0:1], vcc
	s_xor_b64 s[0:1], exec, s[0:1]
	s_cbranch_execnz .LBB26_18
; %bb.9:                                ;   in Loop: Header=BB26_8 Depth=1
	s_andn2_saveexec_b64 s[0:1], s[0:1]
	s_cbranch_execnz .LBB26_23
.LBB26_10:                              ;   in Loop: Header=BB26_8 Depth=1
	s_or_b64 exec, exec, s[0:1]
	v_cmp_gt_i64_e32 vcc, s[8:9], v[16:17]
	s_and_saveexec_b64 s[6:7], vcc
	s_cbranch_execz .LBB26_12
.LBB26_11:                              ;   in Loop: Header=BB26_8 Depth=1
	v_cvt_f32_u32_e32 v1, v2
	v_mov_b32_e32 v2, 0x2f800000
	v_mov_b32_e32 v9, s11
	v_fmac_f32_e32 v2, 0x2f800000, v1
	v_cmp_gt_f32_e32 vcc, s17, v2
	v_cndmask_b32_e32 v1, 1.0, v44, vcc
	v_mul_f32_e32 v1, v2, v1
	v_log_f32_e32 v1, v1
	v_add_u32_e32 v2, s25, v40
	v_ashrrev_i32_e32 v11, 31, v2
	v_mul_f32_e32 v10, 0x3f317217, v1
	v_fma_f32 v12, v1, s23, -v10
	v_fmac_f32_e32 v12, 0x3377d1cf, v1
	v_add_f32_e32 v10, v10, v12
	v_cmp_lt_f32_e64 s[0:1], |v1|, s24
	v_cndmask_b32_e64 v1, v1, v10, s[0:1]
	v_cndmask_b32_e32 v10, 0, v45, vcc
	v_sub_f32_e32 v1, v1, v10
	v_div_scale_f32 v12, s[0:1], v39, v39, v1
	v_rcp_f32_e32 v13, v12
	v_add_co_u32_e32 v10, vcc, s10, v2
	v_addc_co_u32_e32 v11, vcc, v9, v11, vcc
	v_fma_f32 v2, -v12, v13, 1.0
	v_fmac_f32_e32 v13, v2, v13
	v_div_scale_f32 v2, vcc, v1, v39, v1
	v_mul_f32_e32 v9, v2, v13
	v_fma_f32 v48, -v12, v9, v2
	v_fmac_f32_e32 v9, v48, v13
	v_fma_f32 v2, -v12, v9, v2
	v_div_fmas_f32 v2, v2, v13, v9
	v_div_fixup_f32 v1, v2, v39, v1
	v_ceil_f32_e32 v1, v1
	global_store_dword v[10:11], v1, off
.LBB26_12:                              ;   in Loop: Header=BB26_8 Depth=1
	s_or_b64 exec, exec, s[6:7]
	v_mov_b32_e32 v1, s14
	v_add_co_u32_e32 v10, vcc, s12, v16
	v_addc_co_u32_e32 v11, vcc, v1, v17, vcc
	v_cmp_gt_i64_e32 vcc, s[8:9], v[10:11]
	s_and_saveexec_b64 s[6:7], vcc
	s_cbranch_execz .LBB26_14
; %bb.13:                               ;   in Loop: Header=BB26_8 Depth=1
	v_cvt_f32_u32_e32 v1, v3
	v_mov_b32_e32 v2, 0x2f800000
	v_mov_b32_e32 v3, s11
	v_fmac_f32_e32 v2, 0x2f800000, v1
	v_cmp_gt_f32_e32 vcc, s17, v2
	v_cndmask_b32_e32 v1, 1.0, v44, vcc
	v_mul_f32_e32 v1, v2, v1
	v_log_f32_e32 v1, v1
	v_add_u32_e32 v2, s25, v43
	v_ashrrev_i32_e32 v9, 31, v2
	v_mul_f32_e32 v10, 0x3f317217, v1
	v_fma_f32 v11, v1, s23, -v10
	v_fmac_f32_e32 v11, 0x3377d1cf, v1
	v_add_f32_e32 v10, v10, v11
	v_cmp_lt_f32_e64 s[0:1], |v1|, s24
	v_cndmask_b32_e64 v1, v1, v10, s[0:1]
	v_cndmask_b32_e32 v10, 0, v45, vcc
	v_sub_f32_e32 v1, v1, v10
	v_div_scale_f32 v10, s[0:1], v39, v39, v1
	v_rcp_f32_e32 v11, v10
	v_add_co_u32_e32 v2, vcc, s10, v2
	v_addc_co_u32_e32 v3, vcc, v3, v9, vcc
	v_fma_f32 v9, -v10, v11, 1.0
	v_fmac_f32_e32 v11, v9, v11
	v_div_scale_f32 v9, vcc, v1, v39, v1
	v_mul_f32_e32 v12, v9, v11
	v_fma_f32 v13, -v10, v12, v9
	v_fmac_f32_e32 v12, v13, v11
	v_fma_f32 v9, -v10, v12, v9
	v_div_fmas_f32 v9, v9, v11, v12
	v_div_fixup_f32 v1, v9, v39, v1
	v_ceil_f32_e32 v1, v1
	global_store_dword v[2:3], v1, off
.LBB26_14:                              ;   in Loop: Header=BB26_8 Depth=1
	s_or_b64 exec, exec, s[6:7]
	v_mov_b32_e32 v1, s19
	v_add_co_u32_e32 v2, vcc, s18, v16
	v_addc_co_u32_e32 v3, vcc, v1, v17, vcc
	v_cmp_gt_i64_e32 vcc, s[8:9], v[2:3]
	s_and_saveexec_b64 s[6:7], vcc
	s_cbranch_execz .LBB26_16
; %bb.15:                               ;   in Loop: Header=BB26_8 Depth=1
	v_cvt_f32_u32_e32 v1, v4
	v_mov_b32_e32 v2, 0x2f800000
	v_mov_b32_e32 v3, s11
	v_fmac_f32_e32 v2, 0x2f800000, v1
	v_cmp_gt_f32_e32 vcc, s17, v2
	v_cndmask_b32_e32 v1, 1.0, v44, vcc
	v_mul_f32_e32 v1, v2, v1
	v_log_f32_e32 v1, v1
	v_add_u32_e32 v2, s25, v42
	v_ashrrev_i32_e32 v4, 31, v2
	v_mul_f32_e32 v9, 0x3f317217, v1
	v_fma_f32 v10, v1, s23, -v9
	v_fmac_f32_e32 v10, 0x3377d1cf, v1
	v_add_f32_e32 v9, v9, v10
	v_cmp_lt_f32_e64 s[0:1], |v1|, s24
	v_cndmask_b32_e64 v1, v1, v9, s[0:1]
	v_cndmask_b32_e32 v9, 0, v45, vcc
	v_sub_f32_e32 v1, v1, v9
	v_div_scale_f32 v9, s[0:1], v39, v39, v1
	v_rcp_f32_e32 v10, v9
	v_add_co_u32_e32 v2, vcc, s10, v2
	v_addc_co_u32_e32 v3, vcc, v3, v4, vcc
	v_fma_f32 v4, -v9, v10, 1.0
	v_fmac_f32_e32 v10, v4, v10
	v_div_scale_f32 v4, vcc, v1, v39, v1
	v_mul_f32_e32 v11, v4, v10
	v_fma_f32 v12, -v9, v11, v4
	v_fmac_f32_e32 v11, v12, v10
	v_fma_f32 v4, -v9, v11, v4
	v_div_fmas_f32 v4, v4, v10, v11
	v_div_fixup_f32 v1, v4, v39, v1
	v_ceil_f32_e32 v1, v1
	global_store_dword v[2:3], v1, off
.LBB26_16:                              ;   in Loop: Header=BB26_8 Depth=1
	s_or_b64 exec, exec, s[6:7]
	v_mov_b32_e32 v1, s21
	v_add_co_u32_e32 v2, vcc, s20, v16
	v_addc_co_u32_e32 v3, vcc, v1, v17, vcc
	v_cmp_gt_i64_e32 vcc, s[8:9], v[2:3]
	s_and_saveexec_b64 s[6:7], vcc
	s_cbranch_execz .LBB26_7
; %bb.17:                               ;   in Loop: Header=BB26_8 Depth=1
	v_cvt_f32_u32_e32 v1, v5
	v_mov_b32_e32 v2, 0x2f800000
	v_mov_b32_e32 v3, s11
	v_fmac_f32_e32 v2, 0x2f800000, v1
	v_cmp_gt_f32_e32 vcc, s17, v2
	v_cndmask_b32_e32 v1, 1.0, v44, vcc
	v_mul_f32_e32 v1, v2, v1
	v_log_f32_e32 v1, v1
	v_add_u32_e32 v2, s25, v41
	v_ashrrev_i32_e32 v4, 31, v2
	v_mul_f32_e32 v5, 0x3f317217, v1
	v_fma_f32 v9, v1, s23, -v5
	v_fmac_f32_e32 v9, 0x3377d1cf, v1
	v_add_f32_e32 v5, v5, v9
	v_cmp_lt_f32_e64 s[0:1], |v1|, s24
	v_cndmask_b32_e64 v1, v1, v5, s[0:1]
	v_cndmask_b32_e32 v5, 0, v45, vcc
	v_sub_f32_e32 v1, v1, v5
	v_div_scale_f32 v5, s[0:1], v39, v39, v1
	v_rcp_f32_e32 v9, v5
	v_add_co_u32_e32 v2, vcc, s10, v2
	v_addc_co_u32_e32 v3, vcc, v3, v4, vcc
	v_fma_f32 v4, -v5, v9, 1.0
	v_fmac_f32_e32 v9, v4, v9
	v_div_scale_f32 v4, vcc, v1, v39, v1
	v_mul_f32_e32 v10, v4, v9
	v_fma_f32 v11, -v5, v10, v4
	v_fmac_f32_e32 v10, v11, v9
	v_fma_f32 v4, -v5, v10, v4
	v_div_fmas_f32 v4, v4, v9, v10
	v_div_fixup_f32 v1, v4, v39, v1
	v_ceil_f32_e32 v1, v1
	global_store_dword v[2:3], v1, off
	s_branch .LBB26_7
.LBB26_18:                              ;   in Loop: Header=BB26_8 Depth=1
	v_cmp_lt_i32_e32 vcc, 2, v18
	s_and_saveexec_b64 s[6:7], vcc
	s_xor_b64 s[6:7], exec, s[6:7]
; %bb.19:                               ;   in Loop: Header=BB26_8 Depth=1
	v_mov_b32_e32 v10, v5
	v_mov_b32_e32 v11, v6
	v_pk_mov_b32 v[2:3], v[10:11], v[10:11] op_sel:[0,1]
	v_pk_mov_b32 v[4:5], v[12:13], v[12:13] op_sel:[0,1]
                                        ; implicit-def: $vgpr12_vgpr13
; %bb.20:                               ;   in Loop: Header=BB26_8 Depth=1
	s_andn2_saveexec_b64 s[6:7], s[6:7]
; %bb.21:                               ;   in Loop: Header=BB26_8 Depth=1
	v_mov_b32_e32 v2, v4
	v_mov_b32_e32 v3, v5
	;; [unrolled: 1-line block ×4, first 2 shown]
; %bb.22:                               ;   in Loop: Header=BB26_8 Depth=1
	s_or_b64 exec, exec, s[6:7]
	s_andn2_saveexec_b64 s[0:1], s[0:1]
	s_cbranch_execz .LBB26_10
.LBB26_23:                              ;   in Loop: Header=BB26_8 Depth=1
	v_cmp_eq_u32_e32 vcc, 1, v18
	s_and_saveexec_b64 s[6:7], vcc
; %bb.24:                               ;   in Loop: Header=BB26_8 Depth=1
	v_mov_b32_e32 v2, v3
	v_mov_b32_e32 v3, v4
	;; [unrolled: 1-line block ×4, first 2 shown]
; %bb.25:                               ;   in Loop: Header=BB26_8 Depth=1
	s_or_b64 exec, exec, s[6:7]
	s_or_b64 exec, exec, s[0:1]
	v_cmp_gt_i64_e32 vcc, s[8:9], v[16:17]
	s_and_saveexec_b64 s[6:7], vcc
	s_cbranch_execnz .LBB26_11
	s_branch .LBB26_12
.LBB26_26:
	s_endpgm
.LBB26_27:
                                        ; implicit-def: $sgpr2_sgpr3
	s_andn2_b64 vcc, exec, s[0:1]
	s_cbranch_vccz .LBB26_4
	s_branch .LBB26_5
	.section	.rodata,"a",@progbits
	.p2align	6, 0x0
	.amdhsa_kernel _ZN2at6native12_GLOBAL__N_143distribution_elementwise_grid_stride_kernelIfLi4EZNS0_9templates4cuda21uniform_and_transformIffPNS_17CUDAGeneratorImplEZZZNS4_16geometric_kernelIS7_EEvRNS_18TensorIteratorBaseEdT_ENKUlvE_clEvENKUlvE5_clEvEUlfE_EEvSA_T1_T2_EUlP25hiprandStatePhilox4_32_10E0_ZNS1_27distribution_nullary_kernelIff15HIP_vector_typeIfLj4EES7_SJ_SE_EEvSA_SG_RKT3_T4_EUlifE_EEvlNS_15PhiloxCudaStateESF_SG_
		.amdhsa_group_segment_fixed_size 0
		.amdhsa_private_segment_fixed_size 0
		.amdhsa_kernarg_size 328
		.amdhsa_user_sgpr_count 6
		.amdhsa_user_sgpr_private_segment_buffer 1
		.amdhsa_user_sgpr_dispatch_ptr 0
		.amdhsa_user_sgpr_queue_ptr 0
		.amdhsa_user_sgpr_kernarg_segment_ptr 1
		.amdhsa_user_sgpr_dispatch_id 0
		.amdhsa_user_sgpr_flat_scratch_init 0
		.amdhsa_user_sgpr_kernarg_preload_length 0
		.amdhsa_user_sgpr_kernarg_preload_offset 0
		.amdhsa_user_sgpr_private_segment_size 0
		.amdhsa_uses_dynamic_stack 0
		.amdhsa_system_sgpr_private_segment_wavefront_offset 0
		.amdhsa_system_sgpr_workgroup_id_x 1
		.amdhsa_system_sgpr_workgroup_id_y 0
		.amdhsa_system_sgpr_workgroup_id_z 0
		.amdhsa_system_sgpr_workgroup_info 0
		.amdhsa_system_vgpr_workitem_id 0
		.amdhsa_next_free_vgpr 50
		.amdhsa_next_free_sgpr 26
		.amdhsa_accum_offset 52
		.amdhsa_reserve_vcc 1
		.amdhsa_reserve_flat_scratch 0
		.amdhsa_float_round_mode_32 0
		.amdhsa_float_round_mode_16_64 0
		.amdhsa_float_denorm_mode_32 3
		.amdhsa_float_denorm_mode_16_64 3
		.amdhsa_dx10_clamp 1
		.amdhsa_ieee_mode 1
		.amdhsa_fp16_overflow 0
		.amdhsa_tg_split 0
		.amdhsa_exception_fp_ieee_invalid_op 0
		.amdhsa_exception_fp_denorm_src 0
		.amdhsa_exception_fp_ieee_div_zero 0
		.amdhsa_exception_fp_ieee_overflow 0
		.amdhsa_exception_fp_ieee_underflow 0
		.amdhsa_exception_fp_ieee_inexact 0
		.amdhsa_exception_int_div_zero 0
	.end_amdhsa_kernel
	.section	.text._ZN2at6native12_GLOBAL__N_143distribution_elementwise_grid_stride_kernelIfLi4EZNS0_9templates4cuda21uniform_and_transformIffPNS_17CUDAGeneratorImplEZZZNS4_16geometric_kernelIS7_EEvRNS_18TensorIteratorBaseEdT_ENKUlvE_clEvENKUlvE5_clEvEUlfE_EEvSA_T1_T2_EUlP25hiprandStatePhilox4_32_10E0_ZNS1_27distribution_nullary_kernelIff15HIP_vector_typeIfLj4EES7_SJ_SE_EEvSA_SG_RKT3_T4_EUlifE_EEvlNS_15PhiloxCudaStateESF_SG_,"axG",@progbits,_ZN2at6native12_GLOBAL__N_143distribution_elementwise_grid_stride_kernelIfLi4EZNS0_9templates4cuda21uniform_and_transformIffPNS_17CUDAGeneratorImplEZZZNS4_16geometric_kernelIS7_EEvRNS_18TensorIteratorBaseEdT_ENKUlvE_clEvENKUlvE5_clEvEUlfE_EEvSA_T1_T2_EUlP25hiprandStatePhilox4_32_10E0_ZNS1_27distribution_nullary_kernelIff15HIP_vector_typeIfLj4EES7_SJ_SE_EEvSA_SG_RKT3_T4_EUlifE_EEvlNS_15PhiloxCudaStateESF_SG_,comdat
.Lfunc_end26:
	.size	_ZN2at6native12_GLOBAL__N_143distribution_elementwise_grid_stride_kernelIfLi4EZNS0_9templates4cuda21uniform_and_transformIffPNS_17CUDAGeneratorImplEZZZNS4_16geometric_kernelIS7_EEvRNS_18TensorIteratorBaseEdT_ENKUlvE_clEvENKUlvE5_clEvEUlfE_EEvSA_T1_T2_EUlP25hiprandStatePhilox4_32_10E0_ZNS1_27distribution_nullary_kernelIff15HIP_vector_typeIfLj4EES7_SJ_SE_EEvSA_SG_RKT3_T4_EUlifE_EEvlNS_15PhiloxCudaStateESF_SG_, .Lfunc_end26-_ZN2at6native12_GLOBAL__N_143distribution_elementwise_grid_stride_kernelIfLi4EZNS0_9templates4cuda21uniform_and_transformIffPNS_17CUDAGeneratorImplEZZZNS4_16geometric_kernelIS7_EEvRNS_18TensorIteratorBaseEdT_ENKUlvE_clEvENKUlvE5_clEvEUlfE_EEvSA_T1_T2_EUlP25hiprandStatePhilox4_32_10E0_ZNS1_27distribution_nullary_kernelIff15HIP_vector_typeIfLj4EES7_SJ_SE_EEvSA_SG_RKT3_T4_EUlifE_EEvlNS_15PhiloxCudaStateESF_SG_
                                        ; -- End function
	.section	.AMDGPU.csdata,"",@progbits
; Kernel info:
; codeLenInByte = 3612
; NumSgprs: 30
; NumVgprs: 50
; NumAgprs: 0
; TotalNumVgprs: 50
; ScratchSize: 0
; MemoryBound: 0
; FloatMode: 240
; IeeeMode: 1
; LDSByteSize: 0 bytes/workgroup (compile time only)
; SGPRBlocks: 3
; VGPRBlocks: 6
; NumSGPRsForWavesPerEU: 30
; NumVGPRsForWavesPerEU: 50
; AccumOffset: 52
; Occupancy: 8
; WaveLimiterHint : 0
; COMPUTE_PGM_RSRC2:SCRATCH_EN: 0
; COMPUTE_PGM_RSRC2:USER_SGPR: 6
; COMPUTE_PGM_RSRC2:TRAP_HANDLER: 0
; COMPUTE_PGM_RSRC2:TGID_X_EN: 1
; COMPUTE_PGM_RSRC2:TGID_Y_EN: 0
; COMPUTE_PGM_RSRC2:TGID_Z_EN: 0
; COMPUTE_PGM_RSRC2:TIDIG_COMP_CNT: 0
; COMPUTE_PGM_RSRC3_GFX90A:ACCUM_OFFSET: 12
; COMPUTE_PGM_RSRC3_GFX90A:TG_SPLIT: 0
	.section	.text._ZN2at6native12_GLOBAL__N_143distribution_elementwise_grid_stride_kernelIfLi4EZNS0_9templates4cuda21uniform_and_transformIffPNS_17CUDAGeneratorImplEZZZNS4_16geometric_kernelIS7_EEvRNS_18TensorIteratorBaseEdT_ENKUlvE_clEvENKUlvE5_clEvEUlfE_EEvSA_T1_T2_EUlP25hiprandStatePhilox4_32_10E0_ZNS1_27distribution_nullary_kernelIff15HIP_vector_typeIfLj4EES7_SJ_SE_EEvSA_SG_RKT3_T4_EUlifE0_EEvlNS_15PhiloxCudaStateESF_SG_,"axG",@progbits,_ZN2at6native12_GLOBAL__N_143distribution_elementwise_grid_stride_kernelIfLi4EZNS0_9templates4cuda21uniform_and_transformIffPNS_17CUDAGeneratorImplEZZZNS4_16geometric_kernelIS7_EEvRNS_18TensorIteratorBaseEdT_ENKUlvE_clEvENKUlvE5_clEvEUlfE_EEvSA_T1_T2_EUlP25hiprandStatePhilox4_32_10E0_ZNS1_27distribution_nullary_kernelIff15HIP_vector_typeIfLj4EES7_SJ_SE_EEvSA_SG_RKT3_T4_EUlifE0_EEvlNS_15PhiloxCudaStateESF_SG_,comdat
	.globl	_ZN2at6native12_GLOBAL__N_143distribution_elementwise_grid_stride_kernelIfLi4EZNS0_9templates4cuda21uniform_and_transformIffPNS_17CUDAGeneratorImplEZZZNS4_16geometric_kernelIS7_EEvRNS_18TensorIteratorBaseEdT_ENKUlvE_clEvENKUlvE5_clEvEUlfE_EEvSA_T1_T2_EUlP25hiprandStatePhilox4_32_10E0_ZNS1_27distribution_nullary_kernelIff15HIP_vector_typeIfLj4EES7_SJ_SE_EEvSA_SG_RKT3_T4_EUlifE0_EEvlNS_15PhiloxCudaStateESF_SG_ ; -- Begin function _ZN2at6native12_GLOBAL__N_143distribution_elementwise_grid_stride_kernelIfLi4EZNS0_9templates4cuda21uniform_and_transformIffPNS_17CUDAGeneratorImplEZZZNS4_16geometric_kernelIS7_EEvRNS_18TensorIteratorBaseEdT_ENKUlvE_clEvENKUlvE5_clEvEUlfE_EEvSA_T1_T2_EUlP25hiprandStatePhilox4_32_10E0_ZNS1_27distribution_nullary_kernelIff15HIP_vector_typeIfLj4EES7_SJ_SE_EEvSA_SG_RKT3_T4_EUlifE0_EEvlNS_15PhiloxCudaStateESF_SG_
	.p2align	8
	.type	_ZN2at6native12_GLOBAL__N_143distribution_elementwise_grid_stride_kernelIfLi4EZNS0_9templates4cuda21uniform_and_transformIffPNS_17CUDAGeneratorImplEZZZNS4_16geometric_kernelIS7_EEvRNS_18TensorIteratorBaseEdT_ENKUlvE_clEvENKUlvE5_clEvEUlfE_EEvSA_T1_T2_EUlP25hiprandStatePhilox4_32_10E0_ZNS1_27distribution_nullary_kernelIff15HIP_vector_typeIfLj4EES7_SJ_SE_EEvSA_SG_RKT3_T4_EUlifE0_EEvlNS_15PhiloxCudaStateESF_SG_,@function
_ZN2at6native12_GLOBAL__N_143distribution_elementwise_grid_stride_kernelIfLi4EZNS0_9templates4cuda21uniform_and_transformIffPNS_17CUDAGeneratorImplEZZZNS4_16geometric_kernelIS7_EEvRNS_18TensorIteratorBaseEdT_ENKUlvE_clEvENKUlvE5_clEvEUlfE_EEvSA_T1_T2_EUlP25hiprandStatePhilox4_32_10E0_ZNS1_27distribution_nullary_kernelIff15HIP_vector_typeIfLj4EES7_SJ_SE_EEvSA_SG_RKT3_T4_EUlifE0_EEvlNS_15PhiloxCudaStateESF_SG_: ; @_ZN2at6native12_GLOBAL__N_143distribution_elementwise_grid_stride_kernelIfLi4EZNS0_9templates4cuda21uniform_and_transformIffPNS_17CUDAGeneratorImplEZZZNS4_16geometric_kernelIS7_EEvRNS_18TensorIteratorBaseEdT_ENKUlvE_clEvENKUlvE5_clEvEUlfE_EEvSA_T1_T2_EUlP25hiprandStatePhilox4_32_10E0_ZNS1_27distribution_nullary_kernelIff15HIP_vector_typeIfLj4EES7_SJ_SE_EEvSA_SG_RKT3_T4_EUlifE0_EEvlNS_15PhiloxCudaStateESF_SG_
; %bb.0:
	s_load_dword s2, s[4:5], 0x20
	s_load_dwordx2 s[0:1], s[4:5], 0x10
	s_load_dwordx4 s[24:27], s[4:5], 0x0
	s_waitcnt lgkmcnt(0)
	s_bitcmp0_b32 s2, 0
	s_mov_b32 s2, 0
	v_pk_mov_b32 v[2:3], s[0:1], s[0:1] op_sel:[0,1]
	v_pk_mov_b32 v[12:13], s[26:27], s[26:27] op_sel:[0,1]
	s_cbranch_scc1 .LBB27_2
; %bb.1:
	v_pk_mov_b32 v[2:3], s[0:1], s[0:1] op_sel:[0,1]
	flat_load_dwordx2 v[2:3], v[2:3]
	v_pk_mov_b32 v[4:5], s[26:27], s[26:27] op_sel:[0,1]
	flat_load_dwordx2 v[12:13], v[4:5]
	s_load_dwordx2 s[0:1], s[4:5], 0x18
	s_waitcnt lgkmcnt(0)
	v_mov_b32_e32 v1, s1
	s_waitcnt vmcnt(0)
	v_add_co_u32_e32 v2, vcc, s0, v2
	v_addc_co_u32_e32 v3, vcc, v3, v1, vcc
.LBB27_2:
	s_load_dword s0, s[4:5], 0x154
	s_load_dword s7, s[4:5], 0x148
	s_waitcnt lgkmcnt(0)
	s_and_b32 s8, s0, 0xffff
	s_add_u32 s9, s24, -1
	s_mul_i32 s33, s7, s8
	s_addc_u32 s3, s25, -1
	s_lshl_b32 s58, s33, 2
	s_cmp_lg_u64 s[2:3], 0
	s_mov_b64 s[0:1], -1
	s_cbranch_scc0 .LBB27_83
; %bb.3:
	v_cvt_f32_u32_e32 v1, s58
	v_cvt_f32_ubyte0_e32 v4, 0
	s_sub_u32 s2, 0, s58
	s_subb_u32 s10, 0, 0
	v_madmk_f32 v1, v4, 0x4f800000, v1
	v_rcp_f32_e32 v1, v1
	v_mul_f32_e32 v1, 0x5f7ffffc, v1
	v_mul_f32_e32 v4, 0x2f800000, v1
	v_trunc_f32_e32 v4, v4
	v_madmk_f32 v1, v4, 0xcf800000, v1
	v_cvt_u32_f32_e32 v4, v4
	v_cvt_u32_f32_e32 v1, v1
	v_readfirstlane_b32 s11, v4
	v_readfirstlane_b32 s12, v1
	s_mul_i32 s13, s2, s11
	s_mul_hi_u32 s15, s2, s12
	s_mul_i32 s14, s10, s12
	s_add_i32 s13, s15, s13
	s_add_i32 s13, s13, s14
	s_mul_i32 s16, s2, s12
	s_mul_hi_u32 s14, s12, s13
	s_mul_i32 s15, s12, s13
	s_mul_hi_u32 s12, s12, s16
	s_add_u32 s12, s12, s15
	s_addc_u32 s14, 0, s14
	s_mul_hi_u32 s17, s11, s16
	s_mul_i32 s16, s11, s16
	s_add_u32 s12, s12, s16
	s_mul_hi_u32 s15, s11, s13
	s_addc_u32 s12, s14, s17
	s_addc_u32 s14, s15, 0
	s_mul_i32 s13, s11, s13
	s_add_u32 s12, s12, s13
	s_addc_u32 s13, 0, s14
	v_add_co_u32_e32 v1, vcc, s12, v1
	s_cmp_lg_u64 vcc, 0
	s_addc_u32 s11, s11, s13
	v_readfirstlane_b32 s13, v1
	s_mul_i32 s12, s2, s11
	s_mul_hi_u32 s14, s2, s13
	s_add_i32 s12, s14, s12
	s_mul_i32 s10, s10, s13
	s_add_i32 s12, s12, s10
	s_mul_i32 s2, s2, s13
	s_mul_hi_u32 s14, s11, s2
	s_mul_i32 s15, s11, s2
	s_mul_i32 s17, s13, s12
	s_mul_hi_u32 s2, s13, s2
	s_mul_hi_u32 s16, s13, s12
	s_add_u32 s2, s2, s17
	s_addc_u32 s13, 0, s16
	s_add_u32 s2, s2, s15
	s_mul_hi_u32 s10, s11, s12
	s_addc_u32 s2, s13, s14
	s_addc_u32 s10, s10, 0
	s_mul_i32 s12, s11, s12
	s_add_u32 s2, s2, s12
	s_addc_u32 s10, 0, s10
	v_add_co_u32_e32 v1, vcc, s2, v1
	s_cmp_lg_u64 vcc, 0
	s_addc_u32 s12, s11, s10
	s_ashr_i32 s10, s3, 31
	s_add_u32 s2, s9, s10
	s_mov_b32 s11, s10
	s_addc_u32 s3, s3, s10
	s_xor_b64 s[2:3], s[2:3], s[10:11]
	v_readfirstlane_b32 s15, v1
	s_mul_i32 s14, s2, s12
	s_mul_hi_u32 s16, s2, s15
	s_mul_hi_u32 s13, s2, s12
	s_add_u32 s14, s16, s14
	s_addc_u32 s13, 0, s13
	s_mul_hi_u32 s17, s3, s15
	s_mul_i32 s15, s3, s15
	s_add_u32 s14, s14, s15
	s_mul_hi_u32 s16, s3, s12
	s_addc_u32 s13, s13, s17
	s_addc_u32 s14, s16, 0
	s_mul_i32 s12, s3, s12
	s_add_u32 s12, s13, s12
	s_addc_u32 s13, 0, s14
	s_add_u32 s14, s12, 1
	s_addc_u32 s15, s13, 0
	s_add_u32 s16, s12, 2
	s_mul_i32 s18, s58, s13
	s_mul_hi_u32 s19, s58, s12
	s_addc_u32 s17, s13, 0
	s_add_i32 s19, s19, s18
	s_mul_i32 s18, s58, s12
	v_mov_b32_e32 v1, s18
	v_sub_co_u32_e32 v1, vcc, s2, v1
	s_cmp_lg_u64 vcc, 0
	s_subb_u32 s2, s3, s19
	v_subrev_co_u32_e32 v4, vcc, s58, v1
	s_cmp_lg_u64 vcc, 0
	s_subb_u32 s3, s2, 0
	v_readfirstlane_b32 s18, v4
	s_cmp_ge_u32 s18, s58
	s_cselect_b32 s18, -1, 0
	s_cmp_eq_u32 s3, 0
	s_cselect_b32 s3, s18, -1
	s_cmp_lg_u32 s3, 0
	s_cselect_b32 s3, s17, s15
	v_readfirstlane_b32 s15, v1
	s_cselect_b32 s14, s16, s14
	s_cmp_ge_u32 s15, s58
	s_cselect_b32 s15, -1, 0
	s_cmp_eq_u32 s2, 0
	s_cselect_b32 s2, s15, -1
	s_cmp_lg_u32 s2, 0
	s_cselect_b32 s3, s3, s13
	s_cselect_b32 s2, s14, s12
	s_xor_b64 s[2:3], s[2:3], s[10:11]
	s_sub_u32 s2, s2, s10
	s_subb_u32 s3, s3, s10
	s_cbranch_execnz .LBB27_5
.LBB27_4:
	v_cvt_f32_u32_e32 v1, s58
	s_sub_i32 s0, 0, s58
	s_mov_b32 s3, 0
	v_rcp_iflag_f32_e32 v1, v1
	v_mul_f32_e32 v1, 0x4f7ffffe, v1
	v_cvt_u32_f32_e32 v1, v1
	v_readfirstlane_b32 s1, v1
	s_mul_i32 s0, s0, s1
	s_mul_hi_u32 s0, s1, s0
	s_add_i32 s1, s1, s0
	s_mul_hi_u32 s0, s9, s1
	s_mul_i32 s2, s0, s58
	s_sub_i32 s2, s9, s2
	s_add_i32 s1, s0, 1
	s_sub_i32 s9, s2, s58
	s_cmp_ge_u32 s2, s58
	s_cselect_b32 s0, s1, s0
	s_cselect_b32 s2, s9, s2
	s_add_i32 s1, s0, 1
	s_cmp_ge_u32 s2, s58
	s_cselect_b32 s2, s1, s0
.LBB27_5:
	v_mov_b32_e32 v1, 0
	v_mov_b32_e32 v4, s6
	v_mad_u64_u32 v[14:15], s[0:1], s8, v4, v[0:1]
	s_add_u32 s0, s2, 1
	s_addc_u32 s1, s3, 0
	s_mul_hi_u32 s2, s7, s8
	s_mul_i32 s1, s33, s1
	s_mul_hi_u32 s3, s33, s0
	s_add_i32 s1, s3, s1
	s_mul_i32 s2, s2, s0
	s_add_i32 s1, s1, s2
	s_mul_i32 s0, s33, s0
	s_lshl_b64 s[26:27], s[0:1], 2
	v_cmp_gt_i64_e32 vcc, s[26:27], v[14:15]
	s_and_saveexec_b64 s[0:1], vcc
	s_cbranch_execz .LBB27_82
; %bb.6:
	s_mov_b32 s0, 0x5384540f
	v_mov_b32_e32 v0, v13
	v_add_co_u32_e32 v22, vcc, s0, v12
	s_mov_b32 s0, 0x646e171e
	v_add_co_u32_e32 v23, vcc, s0, v0
	s_mov_b32 s0, 0x1715609d
	;; [unrolled: 2-line block ×6, first 2 shown]
	v_alignbit_b32 v29, v3, v2, 2
	s_mov_b32 s60, 0xd2511f53
	v_add_co_u32_e32 v28, vcc, s0, v12
	v_mad_u64_u32 v[4:5], s[0:1], v29, s60, 0
	v_xor_b32_e32 v1, v5, v13
	v_xor_b32_e32 v1, v1, v15
	s_mov_b32 s61, 0xcd9e8d57
	v_mad_u64_u32 v[6:7], s[0:1], v1, s61, 0
	v_xor_b32_e32 v1, v28, v7
	v_mad_u64_u32 v[8:9], s[0:1], v14, s61, 0
	v_and_b32_e32 v18, 3, v2
	v_xor_b32_e32 v1, v1, v8
	v_xor_b32_e32 v2, v12, v9
	v_lshrrev_b32_e32 v30, 2, v3
	v_mad_u64_u32 v[10:11], s[0:1], v1, s60, 0
	v_xor_b32_e32 v2, v2, v30
	v_xor_b32_e32 v1, v27, v11
	v_mad_u64_u32 v[2:3], s[0:1], v2, s60, 0
	v_xor_b32_e32 v1, v1, v2
	v_mad_u64_u32 v[8:9], s[0:1], v1, s61, 0
	s_mov_b32 s0, 0xbb67ae85
	v_add_co_u32_e32 v31, vcc, s0, v0
	v_xor_b32_e32 v2, v31, v3
	v_xor_b32_e32 v2, v2, v4
	v_xor_b32_e32 v1, v26, v9
	v_mad_u64_u32 v[2:3], s[0:1], v2, s61, 0
	v_xor_b32_e32 v1, v1, v2
	v_mad_u64_u32 v[4:5], s[0:1], v1, s60, 0
	s_mov_b32 s0, 0x3c6ef372
	v_add_co_u32_e32 v32, vcc, s0, v12
	v_xor_b32_e32 v2, v32, v3
	;; [unrolled: 8-line block ×6, first 2 shown]
	v_add_co_u32_e32 v21, vcc, 0xdb3d7428, v0
	v_xor_b32_e32 v2, v2, v6
	v_xor_b32_e32 v1, v21, v5
	v_mad_u64_u32 v[2:3], s[0:1], v2, s60, 0
	v_xor_b32_e32 v1, v1, v2
	v_mad_u64_u32 v[6:7], s[0:1], v1, s61, 0
	s_mov_b32 s0, 0x1fd5c5a3
	v_add_co_u32_e32 v37, vcc, s0, v0
	v_xor_b32_e32 v0, v37, v3
	v_xor_b32_e32 v0, v0, v10
	v_mad_u64_u32 v[0:1], s[0:1], v0, s61, 0
	s_mov_b32 s0, 0xf1bbcdc8
	v_add_co_u32_e32 v38, vcc, s0, v12
	s_load_dwordx2 s[46:47], s[4:5], 0xf4
	s_load_dwordx4 s[28:31], s[4:5], 0x138
	v_xor_b32_e32 v1, v38, v1
	v_xor_b32_e32 v1, v1, v8
	v_mad_u64_u32 v[8:9], s[0:1], v1, s60, 0
	v_add_u32_e32 v20, 0x96a522ad, v13
	v_xor_b32_e32 v1, v9, v4
	v_xor_b32_e32 v2, v20, v1
	v_mov_b32_e32 v1, v6
	s_waitcnt lgkmcnt(0)
	v_cvt_f32_f64_e32 v6, s[30:31]
	v_xor_b32_e32 v0, v7, v0
	v_sub_f32_e32 v7, 1.0, v6
	v_add_f32_e32 v4, -1.0, v7
	v_sub_f32_e32 v5, v4, v7
	v_add_f32_e32 v5, 1.0, v5
	v_sub_f32_e64 v4, -v6, v4
	v_mov_b32_e32 v3, v8
	v_add_f32_e32 v8, v4, v5
	v_frexp_mant_f32_e32 v9, v7
	s_mov_b32 s0, 0x3f2aaaab
	v_cvt_f64_f32_e32 v[4:5], v7
	v_frexp_exp_i32_f64_e32 v4, v[4:5]
	v_cmp_gt_f32_e32 vcc, s0, v9
	v_subbrev_co_u32_e32 v4, vcc, 0, v4, vcc
	v_sub_u32_e32 v5, 0, v4
	v_ldexp_f32 v7, v7, v5
	v_ldexp_f32 v5, v8, v5
	v_add_f32_e32 v8, -1.0, v7
	v_add_f32_e32 v11, 1.0, v7
	v_add_f32_e32 v9, 1.0, v8
	v_add_f32_e32 v16, -1.0, v11
	v_sub_f32_e32 v9, v7, v9
	v_sub_f32_e32 v7, v7, v16
	v_add_f32_e32 v9, v5, v9
	v_add_f32_e32 v5, v5, v7
	v_add_f32_e32 v7, v11, v5
	v_rcp_f32_e32 v16, v7
	v_add_f32_e32 v10, v8, v9
	v_sub_f32_e32 v8, v10, v8
	v_sub_f32_e32 v8, v9, v8
	;; [unrolled: 1-line block ×4, first 2 shown]
	v_mul_f32_e32 v9, v10, v16
	v_mul_f32_e32 v11, v7, v9
	v_fma_f32 v17, v9, v7, -v11
	v_fmac_f32_e32 v17, v9, v5
	v_add_f32_e32 v39, v11, v17
	v_sub_f32_e32 v40, v10, v39
	v_sub_f32_e32 v10, v10, v40
	;; [unrolled: 1-line block ×4, first 2 shown]
	v_add_f32_e32 v8, v8, v10
	v_sub_f32_e32 v10, v11, v17
	v_add_f32_e32 v8, v10, v8
	v_add_f32_e32 v10, v40, v8
	v_mul_f32_e32 v11, v16, v10
	v_mul_f32_e32 v17, v7, v11
	v_fma_f32 v7, v11, v7, -v17
	v_fmac_f32_e32 v7, v11, v5
	v_sub_f32_e32 v5, v40, v10
	v_add_f32_e32 v5, v8, v5
	v_add_f32_e32 v8, v17, v7
	v_sub_f32_e32 v39, v10, v8
	v_sub_f32_e32 v10, v10, v39
	;; [unrolled: 1-line block ×4, first 2 shown]
	v_add_f32_e32 v5, v5, v8
	v_sub_f32_e32 v7, v17, v7
	v_add_f32_e32 v5, v7, v5
	v_add_f32_e32 v7, v9, v11
	;; [unrolled: 1-line block ×3, first 2 shown]
	v_sub_f32_e32 v8, v7, v9
	v_mul_f32_e32 v5, v16, v5
	v_sub_f32_e32 v8, v11, v8
	v_add_f32_e32 v5, v8, v5
	v_cvt_f32_i32_e32 v4, v4
	v_add_f32_e32 v8, v7, v5
	v_mul_f32_e32 v9, v8, v8
	v_mov_b32_e32 v10, 0x3ecc95a3
	v_fmac_f32_e32 v10, 0x3e9b6dac, v9
	v_mov_b32_e32 v11, 0x3f2aaada
	v_fmac_f32_e32 v11, v9, v10
	s_mov_b32 s0, 0x3f317218
	v_mul_f32_e32 v10, 0x3f317218, v4
	v_fma_f32 v16, v4, s0, -v10
	v_fmac_f32_e32 v16, 0xb102e308, v4
	v_sub_f32_e32 v4, v8, v7
	v_sub_f32_e32 v4, v5, v4
	v_add_f32_e32 v5, v10, v16
	v_sub_f32_e32 v7, v5, v10
	v_ldexp_f32 v10, v8, 1
	v_mul_f32_e32 v8, v8, v9
	v_mul_f32_e32 v8, v8, v11
	v_add_f32_e32 v9, v10, v8
	v_sub_f32_e32 v10, v9, v10
	v_ldexp_f32 v4, v4, 1
	v_sub_f32_e32 v8, v8, v10
	v_add_f32_e32 v4, v4, v8
	v_add_f32_e32 v8, v9, v4
	v_sub_f32_e32 v9, v8, v9
	s_load_dwordx8 s[8:15], s[4:5], 0x30
	v_sub_f32_e32 v4, v4, v9
	v_add_f32_e32 v9, v5, v8
	v_sub_f32_e32 v10, v9, v5
	v_sub_f32_e32 v11, v9, v10
	;; [unrolled: 1-line block ×5, first 2 shown]
	s_add_u32 s34, s4, 48
	v_add_f32_e32 v5, v8, v5
	v_add_f32_e32 v8, v7, v4
	s_addc_u32 s35, s5, 0
	s_waitcnt lgkmcnt(0)
	s_add_i32 s2, s8, -1
	v_sub_f32_e32 v10, v8, v7
	s_cmp_gt_u32 s2, 1
	v_sub_f32_e32 v11, v8, v10
	s_cselect_b64 s[40:41], -1, 0
	s_cmp_lg_u32 s8, 0
	v_sub_f32_e32 v7, v7, v11
	v_sub_f32_e32 v4, v4, v10
	v_add_f32_e32 v5, v8, v5
	s_cselect_b64 s[42:43], -1, 0
	s_add_u32 s44, s4, 0xf4
	v_add_f32_e32 v4, v4, v7
	v_add_f32_e32 v7, v9, v5
	s_addc_u32 s45, s5, 0
	s_min_u32 s3, s2, 15
	v_sub_f32_e32 v8, v7, v9
	s_cmp_gt_u32 s8, 1
	v_sub_f32_e32 v5, v5, v8
	s_cselect_b64 s[48:49], -1, 0
	v_add_f32_e32 v4, v4, v5
	s_mov_b32 s0, 0xff800000
	s_add_i32 s3, s3, 1
	s_mov_b32 s8, s13
	v_add_f32_e32 v4, v7, v4
	v_cmp_eq_f32_e32 vcc, s0, v6
	s_lshl_b32 s13, s33, 1
	s_and_b32 s64, s3, 3
	v_cndmask_b32_e64 v4, v4, -v6, vcc
	v_mov_b32_e32 v5, 0x7fc00000
	v_cmp_nlt_f32_e32 vcc, 1.0, v6
	s_cmp_lg_u32 s2, 2
	v_cndmask_b32_e32 v4, v5, v4, vcc
	v_mov_b32_e32 v5, 0xff800000
	v_cmp_neq_f32_e32 vcc, 1.0, v6
	s_mov_b32 s0, 0x33800000
	s_cselect_b64 s[30:31], -1, 0
	s_and_b32 s65, s3, 28
	s_mov_b32 s59, 0
	v_add_u32_e32 v19, 0x8ff34781, v12
	v_cndmask_b32_e32 v4, v5, v4, vcc
	v_cmp_lt_f32_e64 s[0:1], |v6|, s0
	s_cmp_lg_u32 s64, 0
	v_xor_b32_e32 v0, v19, v0
	v_cndmask_b32_e64 v39, v4, -v6, s[0:1]
	s_mov_b32 s15, s59
	s_mul_i32 s62, s33, 3
	s_mov_b32 s63, s59
	s_mov_b64 s[50:51], 0
	s_cselect_b64 s[52:53], -1, 0
	s_mov_b32 s66, 0x800000
	s_mov_b32 s67, 0x3f317217
	;; [unrolled: 1-line block ×3, first 2 shown]
	v_mov_b32_e32 v40, 0x4f800000
	v_mov_b32_e32 v41, 0x41b17218
	v_mov_b32_e32 v42, v14
	v_mov_b32_e32 v43, v15
	s_branch .LBB27_9
.LBB27_7:                               ;   in Loop: Header=BB27_9 Depth=1
	v_cvt_f32_u32_e32 v1, v3
	v_mov_b32_e32 v2, 0x2f800000
	v_fmac_f32_e32 v2, 0x2f800000, v1
	v_cmp_gt_f32_e32 vcc, s66, v2
	v_cndmask_b32_e32 v1, 1.0, v40, vcc
	v_mul_f32_e32 v1, v2, v1
	v_log_f32_e32 v1, v1
	v_cndmask_b32_e32 v2, 0, v41, vcc
	v_mul_f32_e32 v3, 0x3f317217, v1
	v_fma_f32 v7, v1, s67, -v3
	v_fmac_f32_e32 v7, 0x3377d1cf, v1
	v_add_f32_e32 v3, v3, v7
	v_cmp_lt_f32_e64 vcc, |v1|, s68
	v_cndmask_b32_e32 v1, v1, v3, vcc
	v_sub_f32_e32 v1, v1, v2
	v_div_scale_f32 v2, s[0:1], v39, v39, v1
	v_rcp_f32_e32 v3, v2
	v_div_scale_f32 v7, vcc, v1, v39, v1
	v_fma_f32 v8, -v2, v3, 1.0
	v_fmac_f32_e32 v3, v8, v3
	v_mul_f32_e32 v8, v7, v3
	v_fma_f32 v9, -v2, v8, v7
	v_fmac_f32_e32 v8, v9, v3
	v_fma_f32 v2, -v2, v8, v7
	v_div_fmas_f32 v2, v2, v3, v8
	v_div_fixup_f32 v1, v2, v39, v1
	v_ceil_f32_e32 v1, v1
	global_store_dword v0, v1, s[28:29]
.LBB27_8:                               ;   in Loop: Header=BB27_9 Depth=1
	s_or_b64 exec, exec, s[36:37]
	v_add_co_u32_e32 v14, vcc, s58, v14
	v_addc_co_u32_e32 v15, vcc, 0, v15, vcc
	v_mov_b32_e32 v7, v16
	v_cmp_le_i64_e32 vcc, s[26:27], v[14:15]
	v_pk_mov_b32 v[0:1], v[4:5], v[4:5] op_sel:[0,1]
	s_or_b64 s[50:51], vcc, s[50:51]
	v_pk_mov_b32 v[2:3], v[6:7], v[6:7] op_sel:[0,1]
	s_barrier
	s_andn2_b64 exec, exec, s[50:51]
	s_cbranch_execz .LBB27_82
.LBB27_9:                               ; =>This Loop Header: Depth=1
                                        ;     Child Loop BB27_24 Depth 2
                                        ;     Child Loop BB27_30 Depth 2
	;; [unrolled: 1-line block ×8, first 2 shown]
	v_add_co_u32_e32 v29, vcc, 1, v29
	v_cndmask_b32_e64 v4, 0, 1, vcc
	v_addc_co_u32_e32 v30, vcc, 0, v30, vcc
	v_cmp_eq_u32_e32 vcc, 0, v30
	v_cndmask_b32_e32 v4, 0, v4, vcc
	v_add_u32_e32 v42, v4, v42
	v_cmp_eq_u32_e32 vcc, 0, v42
	v_cndmask_b32_e32 v4, 0, v4, vcc
	v_add_u32_e32 v43, v4, v43
	v_mad_u64_u32 v[4:5], s[0:1], v29, s60, 0
	v_mad_u64_u32 v[6:7], s[0:1], v42, s61, 0
	v_xor_b32_e32 v5, v5, v13
	v_xor_b32_e32 v7, v7, v12
	v_xor_b32_e32 v5, v43, v5
	v_xor_b32_e32 v7, v30, v7
	v_mad_u64_u32 v[10:11], s[0:1], v5, s61, 0
	v_mad_u64_u32 v[8:9], s[0:1], v7, s60, 0
	v_xor_b32_e32 v5, v28, v11
	v_xor_b32_e32 v5, v5, v6
	v_xor_b32_e32 v6, v31, v9
	v_xor_b32_e32 v6, v6, v4
	;; [unrolled: 6-line block ×10, first 2 shown]
	v_mov_b32_e32 v5, v10
	v_mov_b32_e32 v6, v11
	v_cmp_lt_i32_e32 vcc, 1, v18
	s_and_saveexec_b64 s[0:1], vcc
	s_xor_b64 s[0:1], exec, s[0:1]
	s_cbranch_execz .LBB27_15
; %bb.10:                               ;   in Loop: Header=BB27_9 Depth=1
	v_cmp_lt_i32_e32 vcc, 2, v18
	s_and_saveexec_b64 s[2:3], vcc
	s_xor_b64 s[2:3], exec, s[2:3]
; %bb.11:                               ;   in Loop: Header=BB27_9 Depth=1
	v_mov_b32_e32 v8, v3
	v_mov_b32_e32 v9, v4
	v_pk_mov_b32 v[0:1], v[8:9], v[8:9] op_sel:[0,1]
	v_pk_mov_b32 v[2:3], v[10:11], v[10:11] op_sel:[0,1]
                                        ; implicit-def: $vgpr10_vgpr11
; %bb.12:                               ;   in Loop: Header=BB27_9 Depth=1
	s_andn2_saveexec_b64 s[2:3], s[2:3]
; %bb.13:                               ;   in Loop: Header=BB27_9 Depth=1
	v_mov_b32_e32 v0, v2
	v_mov_b32_e32 v1, v3
	v_mov_b32_e32 v2, v4
	v_mov_b32_e32 v3, v10
; %bb.14:                               ;   in Loop: Header=BB27_9 Depth=1
	s_or_b64 exec, exec, s[2:3]
.LBB27_15:                              ;   in Loop: Header=BB27_9 Depth=1
	s_andn2_saveexec_b64 s[0:1], s[0:1]
	s_cbranch_execz .LBB27_19
; %bb.16:                               ;   in Loop: Header=BB27_9 Depth=1
	v_cmp_eq_u32_e32 vcc, 1, v18
	s_and_saveexec_b64 s[2:3], vcc
; %bb.17:                               ;   in Loop: Header=BB27_9 Depth=1
	v_mov_b32_e32 v0, v1
	v_mov_b32_e32 v1, v2
	;; [unrolled: 1-line block ×4, first 2 shown]
; %bb.18:                               ;   in Loop: Header=BB27_9 Depth=1
	s_or_b64 exec, exec, s[2:3]
.LBB27_19:                              ;   in Loop: Header=BB27_9 Depth=1
	s_or_b64 exec, exec, s[0:1]
	v_cndmask_b32_e64 v7, 0, 1, s[40:41]
	v_cmp_gt_i64_e32 vcc, s[24:25], v[14:15]
	v_cmp_ne_u32_e64 s[0:1], 1, v7
	s_and_saveexec_b64 s[2:3], vcc
	s_cbranch_execz .LBB27_35
; %bb.20:                               ;   in Loop: Header=BB27_9 Depth=1
	s_and_b64 vcc, exec, s[0:1]
	s_cbranch_vccnz .LBB27_26
; %bb.21:                               ;   in Loop: Header=BB27_9 Depth=1
	s_andn2_b64 vcc, exec, s[42:43]
	s_cbranch_vccnz .LBB27_27
; %bb.22:                               ;   in Loop: Header=BB27_9 Depth=1
	s_mov_b32 s6, 0
	s_andn2_b64 vcc, exec, s[30:31]
	v_mov_b32_e32 v8, 0
	s_cbranch_vccnz .LBB27_28
; %bb.23:                               ;   in Loop: Header=BB27_9 Depth=1
	s_mov_b32 s69, 0
	v_mov_b32_e32 v8, 0
	s_mov_b64 s[54:55], s[34:35]
	s_mov_b64 s[56:57], s[44:45]
	v_mov_b32_e32 v7, v14
.LBB27_24:                              ;   Parent Loop BB27_9 Depth=1
                                        ; =>  This Inner Loop Header: Depth=2
	s_load_dwordx8 s[16:23], s[54:55], 0x4
	s_load_dwordx4 s[4:7], s[54:55], 0x24
	s_load_dwordx4 s[36:39], s[56:57], 0x0
	s_add_u32 s54, s54, 48
	s_addc_u32 s55, s55, 0
	s_waitcnt lgkmcnt(0)
	v_mul_hi_u32 v9, s17, v7
	v_add_u32_e32 v9, v7, v9
	v_lshrrev_b32_e32 v9, s18, v9
	v_mul_lo_u32 v10, v9, s16
	v_mul_hi_u32 v11, s20, v9
	v_sub_u32_e32 v7, v7, v10
	v_add_u32_e32 v10, v9, v11
	v_lshrrev_b32_e32 v10, s21, v10
	v_mul_lo_u32 v11, v10, s19
	v_mul_hi_u32 v17, s23, v10
	v_sub_u32_e32 v9, v9, v11
	v_add_u32_e32 v11, v10, v17
	v_mul_lo_u32 v7, v7, s36
	v_mul_lo_u32 v9, v9, s37
	v_lshrrev_b32_e32 v11, s4, v11
	v_add3_u32 v8, v7, v8, v9
	v_mul_lo_u32 v7, v11, s22
	v_mul_hi_u32 v9, s6, v11
	v_sub_u32_e32 v7, v10, v7
	v_add_u32_e32 v9, v11, v9
	v_mul_lo_u32 v10, v7, s38
	v_lshrrev_b32_e32 v7, s7, v9
	s_add_i32 s69, s69, 4
	v_mul_lo_u32 v9, v7, s5
	s_add_u32 s56, s56, 16
	v_sub_u32_e32 v9, v11, v9
	s_addc_u32 s57, s57, 0
	v_mul_lo_u32 v9, v9, s39
	s_cmp_lg_u32 s65, s69
	v_add3_u32 v8, v10, v8, v9
	s_cbranch_scc1 .LBB27_24
; %bb.25:                               ;   in Loop: Header=BB27_9 Depth=1
	s_mov_b32 s6, s65
	s_andn2_b64 vcc, exec, s[52:53]
	s_cbranch_vccz .LBB27_29
	s_branch .LBB27_31
.LBB27_26:                              ;   in Loop: Header=BB27_9 Depth=1
                                        ; implicit-def: $vgpr8
	s_branch .LBB27_32
.LBB27_27:                              ;   in Loop: Header=BB27_9 Depth=1
	v_mov_b32_e32 v8, 0
	s_branch .LBB27_31
.LBB27_28:                              ;   in Loop: Header=BB27_9 Depth=1
	v_mov_b32_e32 v7, v14
	s_andn2_b64 vcc, exec, s[52:53]
	s_cbranch_vccnz .LBB27_31
.LBB27_29:                              ;   in Loop: Header=BB27_9 Depth=1
	s_lshl_b32 s4, s6, 2
	s_add_u32 s4, s44, s4
	s_addc_u32 s5, s45, 0
	s_mul_i32 s6, s6, 12
	s_add_u32 s6, s34, s6
	s_addc_u32 s7, s35, 0
	s_mov_b32 s16, s64
.LBB27_30:                              ;   Parent Loop BB27_9 Depth=1
                                        ; =>  This Inner Loop Header: Depth=2
	s_load_dwordx2 s[18:19], s[6:7], 0x4
	s_load_dword s17, s[6:7], 0xc
	s_load_dword s20, s[4:5], 0x0
	s_add_u32 s6, s6, 12
	s_addc_u32 s7, s7, 0
	s_waitcnt lgkmcnt(0)
	v_mul_hi_u32 v9, s19, v7
	v_add_u32_e32 v9, v7, v9
	v_lshrrev_b32_e32 v9, s17, v9
	s_add_u32 s4, s4, 4
	v_mul_lo_u32 v10, v9, s18
	s_addc_u32 s5, s5, 0
	s_add_i32 s16, s16, -1
	v_sub_u32_e32 v10, v7, v10
	s_cmp_lg_u32 s16, 0
	v_mov_b32_e32 v7, v9
	v_mad_u64_u32 v[8:9], s[18:19], v10, s20, v[8:9]
	s_cbranch_scc1 .LBB27_30
.LBB27_31:                              ;   in Loop: Header=BB27_9 Depth=1
	s_cbranch_execnz .LBB27_34
.LBB27_32:                              ;   in Loop: Header=BB27_9 Depth=1
	v_mul_hi_u32 v7, v14, s10
	v_add_u32_e32 v7, v7, v14
	v_lshrrev_b32_e32 v7, s11, v7
	v_mul_lo_u32 v8, v7, s9
	v_sub_u32_e32 v8, v14, v8
	s_andn2_b64 vcc, exec, s[48:49]
	v_mul_lo_u32 v8, v8, s46
	s_cbranch_vccnz .LBB27_34
; %bb.33:                               ;   in Loop: Header=BB27_9 Depth=1
	v_mul_hi_u32 v9, s8, v7
	v_add_u32_e32 v9, v7, v9
	v_lshrrev_b32_e32 v9, s14, v9
	v_mul_lo_u32 v9, v9, s12
	v_sub_u32_e32 v7, v7, v9
	v_mad_u64_u32 v[8:9], s[4:5], v7, s47, v[8:9]
.LBB27_34:                              ;   in Loop: Header=BB27_9 Depth=1
	v_cvt_f32_u32_e32 v0, v0
	v_mov_b32_e32 v7, 0x2f800000
	v_fmac_f32_e32 v7, 0x2f800000, v0
	v_cmp_gt_f32_e32 vcc, s66, v7
	v_cndmask_b32_e32 v0, 1.0, v40, vcc
	v_mul_f32_e32 v0, v7, v0
	v_log_f32_e32 v0, v0
	v_cndmask_b32_e32 v7, 0, v41, vcc
	v_mul_f32_e32 v9, 0x3f317217, v0
	v_fma_f32 v10, v0, s67, -v9
	v_fmac_f32_e32 v10, 0x3377d1cf, v0
	v_add_f32_e32 v9, v9, v10
	v_cmp_lt_f32_e64 vcc, |v0|, s68
	v_cndmask_b32_e32 v0, v0, v9, vcc
	v_sub_f32_e32 v0, v0, v7
	v_div_scale_f32 v7, s[4:5], v39, v39, v0
	v_rcp_f32_e32 v9, v7
	v_div_scale_f32 v10, vcc, v0, v39, v0
	v_fma_f32 v11, -v7, v9, 1.0
	v_fmac_f32_e32 v9, v11, v9
	v_mul_f32_e32 v11, v10, v9
	v_fma_f32 v17, -v7, v11, v10
	v_fmac_f32_e32 v11, v17, v9
	v_fma_f32 v7, -v7, v11, v10
	v_div_fmas_f32 v7, v7, v9, v11
	v_div_fixup_f32 v0, v7, v39, v0
	v_ceil_f32_e32 v0, v0
	global_store_dword v8, v0, s[28:29]
.LBB27_35:                              ;   in Loop: Header=BB27_9 Depth=1
	s_or_b64 exec, exec, s[2:3]
	v_mov_b32_e32 v0, s59
	v_add_co_u32_e32 v10, vcc, s33, v14
	v_addc_co_u32_e32 v11, vcc, v15, v0, vcc
	v_cmp_gt_i64_e32 vcc, s[24:25], v[10:11]
	s_and_saveexec_b64 s[2:3], vcc
	s_cbranch_execz .LBB27_51
; %bb.36:                               ;   in Loop: Header=BB27_9 Depth=1
	s_and_b64 vcc, exec, s[0:1]
	s_cbranch_vccnz .LBB27_42
; %bb.37:                               ;   in Loop: Header=BB27_9 Depth=1
	s_andn2_b64 vcc, exec, s[42:43]
	s_cbranch_vccnz .LBB27_43
; %bb.38:                               ;   in Loop: Header=BB27_9 Depth=1
	s_mov_b32 s6, 0
	s_andn2_b64 vcc, exec, s[30:31]
	v_mov_b32_e32 v8, 0
	s_cbranch_vccnz .LBB27_44
; %bb.39:                               ;   in Loop: Header=BB27_9 Depth=1
	s_mov_b32 s69, 0
	v_mov_b32_e32 v8, 0
	s_mov_b64 s[54:55], s[34:35]
	s_mov_b64 s[56:57], s[44:45]
	v_mov_b32_e32 v0, v10
.LBB27_40:                              ;   Parent Loop BB27_9 Depth=1
                                        ; =>  This Inner Loop Header: Depth=2
	s_load_dwordx8 s[16:23], s[54:55], 0x4
	s_load_dwordx4 s[4:7], s[54:55], 0x24
	s_load_dwordx4 s[36:39], s[56:57], 0x0
	s_add_u32 s54, s54, 48
	s_addc_u32 s55, s55, 0
	s_waitcnt lgkmcnt(0)
	v_mul_hi_u32 v7, s17, v0
	v_add_u32_e32 v7, v0, v7
	v_lshrrev_b32_e32 v7, s18, v7
	v_mul_lo_u32 v9, v7, s16
	v_mul_hi_u32 v11, s20, v7
	v_sub_u32_e32 v0, v0, v9
	v_add_u32_e32 v9, v7, v11
	v_lshrrev_b32_e32 v9, s21, v9
	v_mul_lo_u32 v11, v9, s19
	v_mul_hi_u32 v17, s23, v9
	v_sub_u32_e32 v7, v7, v11
	v_add_u32_e32 v11, v9, v17
	v_mul_lo_u32 v0, v0, s36
	v_mul_lo_u32 v7, v7, s37
	v_lshrrev_b32_e32 v11, s4, v11
	v_add3_u32 v7, v0, v8, v7
	v_mul_lo_u32 v0, v11, s22
	v_mul_hi_u32 v8, s6, v11
	v_sub_u32_e32 v0, v9, v0
	v_add_u32_e32 v8, v11, v8
	v_mul_lo_u32 v9, v0, s38
	v_lshrrev_b32_e32 v0, s7, v8
	s_add_i32 s69, s69, 4
	v_mul_lo_u32 v8, v0, s5
	s_add_u32 s56, s56, 16
	v_sub_u32_e32 v8, v11, v8
	s_addc_u32 s57, s57, 0
	v_mul_lo_u32 v8, v8, s39
	s_cmp_eq_u32 s65, s69
	v_add3_u32 v8, v9, v7, v8
	s_cbranch_scc0 .LBB27_40
; %bb.41:                               ;   in Loop: Header=BB27_9 Depth=1
	s_mov_b32 s6, s65
	s_andn2_b64 vcc, exec, s[52:53]
	s_cbranch_vccz .LBB27_45
	s_branch .LBB27_47
.LBB27_42:                              ;   in Loop: Header=BB27_9 Depth=1
                                        ; implicit-def: $vgpr8
	s_branch .LBB27_48
.LBB27_43:                              ;   in Loop: Header=BB27_9 Depth=1
	v_mov_b32_e32 v8, 0
	s_branch .LBB27_47
.LBB27_44:                              ;   in Loop: Header=BB27_9 Depth=1
	v_mov_b32_e32 v0, v10
	s_andn2_b64 vcc, exec, s[52:53]
	s_cbranch_vccnz .LBB27_47
.LBB27_45:                              ;   in Loop: Header=BB27_9 Depth=1
	s_lshl_b32 s4, s6, 2
	s_add_u32 s4, s44, s4
	s_addc_u32 s5, s45, 0
	s_mul_i32 s6, s6, 12
	s_add_u32 s6, s34, s6
	s_addc_u32 s7, s35, 0
	s_mov_b32 s16, s64
.LBB27_46:                              ;   Parent Loop BB27_9 Depth=1
                                        ; =>  This Inner Loop Header: Depth=2
	s_load_dwordx2 s[18:19], s[6:7], 0x4
	s_load_dword s17, s[6:7], 0xc
	s_load_dword s20, s[4:5], 0x0
	s_add_u32 s6, s6, 12
	s_addc_u32 s7, s7, 0
	s_waitcnt lgkmcnt(0)
	v_mul_hi_u32 v7, s19, v0
	v_add_u32_e32 v7, v0, v7
	v_lshrrev_b32_e32 v7, s17, v7
	s_add_u32 s4, s4, 4
	v_mul_lo_u32 v9, v7, s18
	s_addc_u32 s5, s5, 0
	s_add_i32 s16, s16, -1
	v_sub_u32_e32 v9, v0, v9
	s_cmp_lg_u32 s16, 0
	v_mov_b32_e32 v0, v7
	v_mad_u64_u32 v[8:9], s[18:19], v9, s20, v[8:9]
	s_cbranch_scc1 .LBB27_46
.LBB27_47:                              ;   in Loop: Header=BB27_9 Depth=1
	s_cbranch_execnz .LBB27_50
.LBB27_48:                              ;   in Loop: Header=BB27_9 Depth=1
	v_mul_hi_u32 v0, v10, s10
	v_add_u32_e32 v0, v0, v10
	v_lshrrev_b32_e32 v0, s11, v0
	v_mul_lo_u32 v7, v0, s9
	v_sub_u32_e32 v7, v10, v7
	s_andn2_b64 vcc, exec, s[48:49]
	v_mul_lo_u32 v8, v7, s46
	s_cbranch_vccnz .LBB27_50
; %bb.49:                               ;   in Loop: Header=BB27_9 Depth=1
	v_mul_hi_u32 v7, s8, v0
	v_add_u32_e32 v7, v0, v7
	v_lshrrev_b32_e32 v7, s14, v7
	v_mul_lo_u32 v7, v7, s12
	v_sub_u32_e32 v0, v0, v7
	v_mad_u64_u32 v[8:9], s[4:5], v0, s47, v[8:9]
.LBB27_50:                              ;   in Loop: Header=BB27_9 Depth=1
	v_cvt_f32_u32_e32 v0, v1
	v_mov_b32_e32 v1, 0x2f800000
	v_fmac_f32_e32 v1, 0x2f800000, v0
	v_cmp_gt_f32_e32 vcc, s66, v1
	v_cndmask_b32_e32 v0, 1.0, v40, vcc
	v_mul_f32_e32 v0, v1, v0
	v_log_f32_e32 v0, v0
	v_cndmask_b32_e32 v1, 0, v41, vcc
	v_mul_f32_e32 v7, 0x3f317217, v0
	v_fma_f32 v9, v0, s67, -v7
	v_fmac_f32_e32 v9, 0x3377d1cf, v0
	v_add_f32_e32 v7, v7, v9
	v_cmp_lt_f32_e64 vcc, |v0|, s68
	v_cndmask_b32_e32 v0, v0, v7, vcc
	v_sub_f32_e32 v0, v0, v1
	v_div_scale_f32 v1, s[4:5], v39, v39, v0
	v_rcp_f32_e32 v7, v1
	v_div_scale_f32 v9, vcc, v0, v39, v0
	v_fma_f32 v10, -v1, v7, 1.0
	v_fmac_f32_e32 v7, v10, v7
	v_mul_f32_e32 v10, v9, v7
	v_fma_f32 v11, -v1, v10, v9
	v_fmac_f32_e32 v10, v11, v7
	v_fma_f32 v1, -v1, v10, v9
	v_div_fmas_f32 v1, v1, v7, v10
	v_div_fixup_f32 v0, v1, v39, v0
	v_ceil_f32_e32 v0, v0
	global_store_dword v8, v0, s[28:29]
.LBB27_51:                              ;   in Loop: Header=BB27_9 Depth=1
	s_or_b64 exec, exec, s[2:3]
	v_mov_b32_e32 v0, s15
	v_add_co_u32_e32 v8, vcc, s13, v14
	v_addc_co_u32_e32 v9, vcc, v15, v0, vcc
	v_cmp_gt_i64_e32 vcc, s[24:25], v[8:9]
	s_and_saveexec_b64 s[2:3], vcc
	s_cbranch_execz .LBB27_67
; %bb.52:                               ;   in Loop: Header=BB27_9 Depth=1
	s_and_b64 vcc, exec, s[0:1]
	s_cbranch_vccnz .LBB27_58
; %bb.53:                               ;   in Loop: Header=BB27_9 Depth=1
	s_andn2_b64 vcc, exec, s[42:43]
	s_cbranch_vccnz .LBB27_59
; %bb.54:                               ;   in Loop: Header=BB27_9 Depth=1
	s_mov_b32 s6, 0
	s_andn2_b64 vcc, exec, s[30:31]
	v_mov_b32_e32 v0, 0
	s_cbranch_vccnz .LBB27_60
; %bb.55:                               ;   in Loop: Header=BB27_9 Depth=1
	s_mov_b32 s69, 0
	v_mov_b32_e32 v0, 0
	s_mov_b64 s[54:55], s[34:35]
	s_mov_b64 s[56:57], s[44:45]
	v_mov_b32_e32 v7, v8
.LBB27_56:                              ;   Parent Loop BB27_9 Depth=1
                                        ; =>  This Inner Loop Header: Depth=2
	s_load_dwordx8 s[16:23], s[54:55], 0x4
	s_load_dwordx4 s[4:7], s[54:55], 0x24
	s_load_dwordx4 s[36:39], s[56:57], 0x0
	s_add_u32 s54, s54, 48
	s_addc_u32 s55, s55, 0
	s_waitcnt lgkmcnt(0)
	v_mul_hi_u32 v1, s17, v7
	v_add_u32_e32 v1, v7, v1
	v_lshrrev_b32_e32 v1, s18, v1
	v_mul_lo_u32 v9, v1, s16
	v_mul_hi_u32 v10, s20, v1
	v_sub_u32_e32 v7, v7, v9
	v_add_u32_e32 v9, v1, v10
	v_lshrrev_b32_e32 v9, s21, v9
	v_mul_lo_u32 v10, v9, s19
	v_mul_hi_u32 v11, s23, v9
	v_sub_u32_e32 v1, v1, v10
	v_add_u32_e32 v10, v9, v11
	v_mul_lo_u32 v7, v7, s36
	v_mul_lo_u32 v1, v1, s37
	v_lshrrev_b32_e32 v10, s4, v10
	v_add3_u32 v0, v7, v0, v1
	v_mul_hi_u32 v7, s6, v10
	v_add_u32_e32 v7, v10, v7
	v_mul_lo_u32 v1, v10, s22
	v_lshrrev_b32_e32 v7, s7, v7
	s_add_i32 s69, s69, 4
	v_sub_u32_e32 v1, v9, v1
	v_mul_lo_u32 v9, v7, s5
	s_add_u32 s56, s56, 16
	v_sub_u32_e32 v9, v10, v9
	s_addc_u32 s57, s57, 0
	v_mul_lo_u32 v1, v1, s38
	v_mul_lo_u32 v9, v9, s39
	s_cmp_eq_u32 s65, s69
	v_add3_u32 v0, v1, v0, v9
	s_cbranch_scc0 .LBB27_56
; %bb.57:                               ;   in Loop: Header=BB27_9 Depth=1
	s_mov_b32 s6, s65
	s_andn2_b64 vcc, exec, s[52:53]
	s_cbranch_vccz .LBB27_61
	s_branch .LBB27_63
.LBB27_58:                              ;   in Loop: Header=BB27_9 Depth=1
                                        ; implicit-def: $vgpr0
	s_branch .LBB27_64
.LBB27_59:                              ;   in Loop: Header=BB27_9 Depth=1
	v_mov_b32_e32 v0, 0
	s_branch .LBB27_63
.LBB27_60:                              ;   in Loop: Header=BB27_9 Depth=1
	v_mov_b32_e32 v7, v8
	s_andn2_b64 vcc, exec, s[52:53]
	s_cbranch_vccnz .LBB27_63
.LBB27_61:                              ;   in Loop: Header=BB27_9 Depth=1
	s_lshl_b32 s4, s6, 2
	s_add_u32 s4, s44, s4
	s_addc_u32 s5, s45, 0
	s_mul_i32 s6, s6, 12
	s_add_u32 s6, s34, s6
	s_addc_u32 s7, s35, 0
	s_mov_b32 s16, s64
.LBB27_62:                              ;   Parent Loop BB27_9 Depth=1
                                        ; =>  This Inner Loop Header: Depth=2
	s_load_dwordx2 s[18:19], s[6:7], 0x4
	s_load_dword s17, s[6:7], 0xc
	s_load_dword s20, s[4:5], 0x0
	s_add_u32 s6, s6, 12
	s_addc_u32 s7, s7, 0
	s_waitcnt lgkmcnt(0)
	v_mul_hi_u32 v1, s19, v7
	v_add_u32_e32 v1, v7, v1
	v_lshrrev_b32_e32 v1, s17, v1
	s_add_u32 s4, s4, 4
	v_mul_lo_u32 v9, v1, s18
	s_addc_u32 s5, s5, 0
	s_add_i32 s16, s16, -1
	v_sub_u32_e32 v9, v7, v9
	s_cmp_lg_u32 s16, 0
	v_mov_b32_e32 v7, v1
	v_mad_u64_u32 v[0:1], s[18:19], v9, s20, v[0:1]
	s_cbranch_scc1 .LBB27_62
.LBB27_63:                              ;   in Loop: Header=BB27_9 Depth=1
	s_cbranch_execnz .LBB27_66
.LBB27_64:                              ;   in Loop: Header=BB27_9 Depth=1
	v_mul_hi_u32 v0, v8, s10
	v_add_u32_e32 v0, v0, v8
	v_lshrrev_b32_e32 v1, s11, v0
	v_mul_lo_u32 v0, v1, s9
	v_sub_u32_e32 v0, v8, v0
	s_andn2_b64 vcc, exec, s[48:49]
	v_mul_lo_u32 v0, v0, s46
	s_cbranch_vccnz .LBB27_66
; %bb.65:                               ;   in Loop: Header=BB27_9 Depth=1
	v_mul_hi_u32 v7, s8, v1
	v_add_u32_e32 v7, v1, v7
	v_lshrrev_b32_e32 v7, s14, v7
	v_mul_lo_u32 v7, v7, s12
	v_sub_u32_e32 v1, v1, v7
	v_mad_u64_u32 v[0:1], s[4:5], v1, s47, v[0:1]
.LBB27_66:                              ;   in Loop: Header=BB27_9 Depth=1
	v_cvt_f32_u32_e32 v1, v2
	v_mov_b32_e32 v2, 0x2f800000
	v_fmac_f32_e32 v2, 0x2f800000, v1
	v_cmp_gt_f32_e32 vcc, s66, v2
	v_cndmask_b32_e32 v1, 1.0, v40, vcc
	v_mul_f32_e32 v1, v2, v1
	v_log_f32_e32 v1, v1
	v_cndmask_b32_e32 v2, 0, v41, vcc
	v_mul_f32_e32 v7, 0x3f317217, v1
	v_fma_f32 v8, v1, s67, -v7
	v_fmac_f32_e32 v8, 0x3377d1cf, v1
	v_add_f32_e32 v7, v7, v8
	v_cmp_lt_f32_e64 vcc, |v1|, s68
	v_cndmask_b32_e32 v1, v1, v7, vcc
	v_sub_f32_e32 v1, v1, v2
	v_div_scale_f32 v2, s[4:5], v39, v39, v1
	v_rcp_f32_e32 v7, v2
	v_div_scale_f32 v8, vcc, v1, v39, v1
	v_fma_f32 v9, -v2, v7, 1.0
	v_fmac_f32_e32 v7, v9, v7
	v_mul_f32_e32 v9, v8, v7
	v_fma_f32 v10, -v2, v9, v8
	v_fmac_f32_e32 v9, v10, v7
	v_fma_f32 v2, -v2, v9, v8
	v_div_fmas_f32 v2, v2, v7, v9
	v_div_fixup_f32 v1, v2, v39, v1
	v_ceil_f32_e32 v1, v1
	global_store_dword v0, v1, s[28:29]
.LBB27_67:                              ;   in Loop: Header=BB27_9 Depth=1
	s_or_b64 exec, exec, s[2:3]
	v_mov_b32_e32 v0, s63
	v_add_co_u32_e32 v8, vcc, s62, v14
	v_addc_co_u32_e32 v9, vcc, v15, v0, vcc
	v_cmp_gt_i64_e32 vcc, s[24:25], v[8:9]
	s_and_saveexec_b64 s[36:37], vcc
	s_cbranch_execz .LBB27_8
; %bb.68:                               ;   in Loop: Header=BB27_9 Depth=1
	s_and_b64 vcc, exec, s[0:1]
	s_cbranch_vccnz .LBB27_74
; %bb.69:                               ;   in Loop: Header=BB27_9 Depth=1
	s_andn2_b64 vcc, exec, s[42:43]
	s_cbranch_vccnz .LBB27_75
; %bb.70:                               ;   in Loop: Header=BB27_9 Depth=1
	s_mov_b32 s2, 0
	s_andn2_b64 vcc, exec, s[30:31]
	v_mov_b32_e32 v0, 0
	s_cbranch_vccnz .LBB27_76
; %bb.71:                               ;   in Loop: Header=BB27_9 Depth=1
	s_mov_b32 s56, 0
	v_mov_b32_e32 v0, 0
	s_mov_b64 s[38:39], s[34:35]
	s_mov_b64 s[54:55], s[44:45]
	v_mov_b32_e32 v2, v8
.LBB27_72:                              ;   Parent Loop BB27_9 Depth=1
                                        ; =>  This Inner Loop Header: Depth=2
	s_load_dwordx8 s[0:7], s[38:39], 0x4
	s_load_dwordx4 s[16:19], s[38:39], 0x24
	s_load_dwordx4 s[20:23], s[54:55], 0x0
	s_add_u32 s38, s38, 48
	s_addc_u32 s39, s39, 0
	s_waitcnt lgkmcnt(0)
	v_mul_hi_u32 v1, s1, v2
	v_add_u32_e32 v1, v2, v1
	v_lshrrev_b32_e32 v1, s2, v1
	v_mul_lo_u32 v7, v1, s0
	v_mul_hi_u32 v9, s4, v1
	v_sub_u32_e32 v2, v2, v7
	v_add_u32_e32 v7, v1, v9
	v_lshrrev_b32_e32 v7, s5, v7
	v_mul_lo_u32 v9, v7, s3
	v_mul_hi_u32 v10, s7, v7
	v_sub_u32_e32 v1, v1, v9
	v_add_u32_e32 v9, v7, v10
	v_mul_lo_u32 v2, v2, s20
	v_mul_lo_u32 v1, v1, s21
	v_lshrrev_b32_e32 v9, s16, v9
	v_add3_u32 v0, v2, v0, v1
	v_mul_hi_u32 v2, s18, v9
	v_add_u32_e32 v2, v9, v2
	v_mul_lo_u32 v1, v9, s6
	v_lshrrev_b32_e32 v2, s19, v2
	s_add_i32 s56, s56, 4
	v_sub_u32_e32 v1, v7, v1
	v_mul_lo_u32 v7, v2, s17
	s_add_u32 s54, s54, 16
	v_sub_u32_e32 v7, v9, v7
	s_addc_u32 s55, s55, 0
	v_mul_lo_u32 v1, v1, s22
	v_mul_lo_u32 v7, v7, s23
	s_cmp_eq_u32 s65, s56
	v_add3_u32 v0, v1, v0, v7
	s_cbranch_scc0 .LBB27_72
; %bb.73:                               ;   in Loop: Header=BB27_9 Depth=1
	s_mov_b32 s2, s65
	s_andn2_b64 vcc, exec, s[52:53]
	s_cbranch_vccz .LBB27_77
	s_branch .LBB27_79
.LBB27_74:                              ;   in Loop: Header=BB27_9 Depth=1
                                        ; implicit-def: $vgpr0
	s_branch .LBB27_80
.LBB27_75:                              ;   in Loop: Header=BB27_9 Depth=1
	v_mov_b32_e32 v0, 0
	s_branch .LBB27_79
.LBB27_76:                              ;   in Loop: Header=BB27_9 Depth=1
	v_mov_b32_e32 v2, v8
	s_andn2_b64 vcc, exec, s[52:53]
	s_cbranch_vccnz .LBB27_79
.LBB27_77:                              ;   in Loop: Header=BB27_9 Depth=1
	s_lshl_b32 s0, s2, 2
	s_add_u32 s0, s44, s0
	s_addc_u32 s1, s45, 0
	s_mul_i32 s2, s2, 12
	s_add_u32 s2, s34, s2
	s_addc_u32 s3, s35, 0
	s_mov_b32 s4, s64
.LBB27_78:                              ;   Parent Loop BB27_9 Depth=1
                                        ; =>  This Inner Loop Header: Depth=2
	s_load_dwordx2 s[6:7], s[2:3], 0x4
	s_load_dword s5, s[2:3], 0xc
	s_load_dword s16, s[0:1], 0x0
	s_add_u32 s2, s2, 12
	s_addc_u32 s3, s3, 0
	s_waitcnt lgkmcnt(0)
	v_mul_hi_u32 v1, s7, v2
	v_add_u32_e32 v1, v2, v1
	v_lshrrev_b32_e32 v1, s5, v1
	s_add_u32 s0, s0, 4
	v_mul_lo_u32 v7, v1, s6
	s_addc_u32 s1, s1, 0
	s_add_i32 s4, s4, -1
	v_sub_u32_e32 v7, v2, v7
	s_cmp_lg_u32 s4, 0
	v_mov_b32_e32 v2, v1
	v_mad_u64_u32 v[0:1], s[6:7], v7, s16, v[0:1]
	s_cbranch_scc1 .LBB27_78
.LBB27_79:                              ;   in Loop: Header=BB27_9 Depth=1
	s_cbranch_execnz .LBB27_7
.LBB27_80:                              ;   in Loop: Header=BB27_9 Depth=1
	v_mul_hi_u32 v0, v8, s10
	v_add_u32_e32 v0, v0, v8
	v_lshrrev_b32_e32 v1, s11, v0
	v_mul_lo_u32 v0, v1, s9
	v_sub_u32_e32 v0, v8, v0
	s_andn2_b64 vcc, exec, s[48:49]
	v_mul_lo_u32 v0, v0, s46
	s_cbranch_vccnz .LBB27_7
; %bb.81:                               ;   in Loop: Header=BB27_9 Depth=1
	v_mul_hi_u32 v2, s8, v1
	v_add_u32_e32 v2, v1, v2
	v_lshrrev_b32_e32 v2, s14, v2
	v_mul_lo_u32 v2, v2, s12
	v_sub_u32_e32 v1, v1, v2
	v_mad_u64_u32 v[0:1], s[0:1], v1, s47, v[0:1]
	s_branch .LBB27_7
.LBB27_82:
	s_endpgm
.LBB27_83:
                                        ; implicit-def: $sgpr2_sgpr3
	s_andn2_b64 vcc, exec, s[0:1]
	s_cbranch_vccz .LBB27_4
	s_branch .LBB27_5
	.section	.rodata,"a",@progbits
	.p2align	6, 0x0
	.amdhsa_kernel _ZN2at6native12_GLOBAL__N_143distribution_elementwise_grid_stride_kernelIfLi4EZNS0_9templates4cuda21uniform_and_transformIffPNS_17CUDAGeneratorImplEZZZNS4_16geometric_kernelIS7_EEvRNS_18TensorIteratorBaseEdT_ENKUlvE_clEvENKUlvE5_clEvEUlfE_EEvSA_T1_T2_EUlP25hiprandStatePhilox4_32_10E0_ZNS1_27distribution_nullary_kernelIff15HIP_vector_typeIfLj4EES7_SJ_SE_EEvSA_SG_RKT3_T4_EUlifE0_EEvlNS_15PhiloxCudaStateESF_SG_
		.amdhsa_group_segment_fixed_size 0
		.amdhsa_private_segment_fixed_size 0
		.amdhsa_kernarg_size 584
		.amdhsa_user_sgpr_count 6
		.amdhsa_user_sgpr_private_segment_buffer 1
		.amdhsa_user_sgpr_dispatch_ptr 0
		.amdhsa_user_sgpr_queue_ptr 0
		.amdhsa_user_sgpr_kernarg_segment_ptr 1
		.amdhsa_user_sgpr_dispatch_id 0
		.amdhsa_user_sgpr_flat_scratch_init 0
		.amdhsa_user_sgpr_kernarg_preload_length 0
		.amdhsa_user_sgpr_kernarg_preload_offset 0
		.amdhsa_user_sgpr_private_segment_size 0
		.amdhsa_uses_dynamic_stack 0
		.amdhsa_system_sgpr_private_segment_wavefront_offset 0
		.amdhsa_system_sgpr_workgroup_id_x 1
		.amdhsa_system_sgpr_workgroup_id_y 0
		.amdhsa_system_sgpr_workgroup_id_z 0
		.amdhsa_system_sgpr_workgroup_info 0
		.amdhsa_system_vgpr_workitem_id 0
		.amdhsa_next_free_vgpr 44
		.amdhsa_next_free_sgpr 70
		.amdhsa_accum_offset 44
		.amdhsa_reserve_vcc 1
		.amdhsa_reserve_flat_scratch 0
		.amdhsa_float_round_mode_32 0
		.amdhsa_float_round_mode_16_64 0
		.amdhsa_float_denorm_mode_32 3
		.amdhsa_float_denorm_mode_16_64 3
		.amdhsa_dx10_clamp 1
		.amdhsa_ieee_mode 1
		.amdhsa_fp16_overflow 0
		.amdhsa_tg_split 0
		.amdhsa_exception_fp_ieee_invalid_op 0
		.amdhsa_exception_fp_denorm_src 0
		.amdhsa_exception_fp_ieee_div_zero 0
		.amdhsa_exception_fp_ieee_overflow 0
		.amdhsa_exception_fp_ieee_underflow 0
		.amdhsa_exception_fp_ieee_inexact 0
		.amdhsa_exception_int_div_zero 0
	.end_amdhsa_kernel
	.section	.text._ZN2at6native12_GLOBAL__N_143distribution_elementwise_grid_stride_kernelIfLi4EZNS0_9templates4cuda21uniform_and_transformIffPNS_17CUDAGeneratorImplEZZZNS4_16geometric_kernelIS7_EEvRNS_18TensorIteratorBaseEdT_ENKUlvE_clEvENKUlvE5_clEvEUlfE_EEvSA_T1_T2_EUlP25hiprandStatePhilox4_32_10E0_ZNS1_27distribution_nullary_kernelIff15HIP_vector_typeIfLj4EES7_SJ_SE_EEvSA_SG_RKT3_T4_EUlifE0_EEvlNS_15PhiloxCudaStateESF_SG_,"axG",@progbits,_ZN2at6native12_GLOBAL__N_143distribution_elementwise_grid_stride_kernelIfLi4EZNS0_9templates4cuda21uniform_and_transformIffPNS_17CUDAGeneratorImplEZZZNS4_16geometric_kernelIS7_EEvRNS_18TensorIteratorBaseEdT_ENKUlvE_clEvENKUlvE5_clEvEUlfE_EEvSA_T1_T2_EUlP25hiprandStatePhilox4_32_10E0_ZNS1_27distribution_nullary_kernelIff15HIP_vector_typeIfLj4EES7_SJ_SE_EEvSA_SG_RKT3_T4_EUlifE0_EEvlNS_15PhiloxCudaStateESF_SG_,comdat
.Lfunc_end27:
	.size	_ZN2at6native12_GLOBAL__N_143distribution_elementwise_grid_stride_kernelIfLi4EZNS0_9templates4cuda21uniform_and_transformIffPNS_17CUDAGeneratorImplEZZZNS4_16geometric_kernelIS7_EEvRNS_18TensorIteratorBaseEdT_ENKUlvE_clEvENKUlvE5_clEvEUlfE_EEvSA_T1_T2_EUlP25hiprandStatePhilox4_32_10E0_ZNS1_27distribution_nullary_kernelIff15HIP_vector_typeIfLj4EES7_SJ_SE_EEvSA_SG_RKT3_T4_EUlifE0_EEvlNS_15PhiloxCudaStateESF_SG_, .Lfunc_end27-_ZN2at6native12_GLOBAL__N_143distribution_elementwise_grid_stride_kernelIfLi4EZNS0_9templates4cuda21uniform_and_transformIffPNS_17CUDAGeneratorImplEZZZNS4_16geometric_kernelIS7_EEvRNS_18TensorIteratorBaseEdT_ENKUlvE_clEvENKUlvE5_clEvEUlfE_EEvSA_T1_T2_EUlP25hiprandStatePhilox4_32_10E0_ZNS1_27distribution_nullary_kernelIff15HIP_vector_typeIfLj4EES7_SJ_SE_EEvSA_SG_RKT3_T4_EUlifE0_EEvlNS_15PhiloxCudaStateESF_SG_
                                        ; -- End function
	.section	.AMDGPU.csdata,"",@progbits
; Kernel info:
; codeLenInByte = 5552
; NumSgprs: 74
; NumVgprs: 44
; NumAgprs: 0
; TotalNumVgprs: 44
; ScratchSize: 0
; MemoryBound: 0
; FloatMode: 240
; IeeeMode: 1
; LDSByteSize: 0 bytes/workgroup (compile time only)
; SGPRBlocks: 9
; VGPRBlocks: 5
; NumSGPRsForWavesPerEU: 74
; NumVGPRsForWavesPerEU: 44
; AccumOffset: 44
; Occupancy: 8
; WaveLimiterHint : 1
; COMPUTE_PGM_RSRC2:SCRATCH_EN: 0
; COMPUTE_PGM_RSRC2:USER_SGPR: 6
; COMPUTE_PGM_RSRC2:TRAP_HANDLER: 0
; COMPUTE_PGM_RSRC2:TGID_X_EN: 1
; COMPUTE_PGM_RSRC2:TGID_Y_EN: 0
; COMPUTE_PGM_RSRC2:TGID_Z_EN: 0
; COMPUTE_PGM_RSRC2:TIDIG_COMP_CNT: 0
; COMPUTE_PGM_RSRC3_GFX90A:ACCUM_OFFSET: 10
; COMPUTE_PGM_RSRC3_GFX90A:TG_SPLIT: 0
	.section	.text._ZN2at6native12_GLOBAL__N_143distribution_elementwise_grid_stride_kernelIfLi4EZNS0_9templates4cuda21uniform_and_transformIN3c104HalfEfPNS_17CUDAGeneratorImplEZZZNS4_16geometric_kernelIS9_EEvRNS_18TensorIteratorBaseEdT_ENKUlvE_clEvENKUlvE6_clEvEUlfE_EEvSC_T1_T2_EUlP25hiprandStatePhilox4_32_10E_ZNS1_27distribution_nullary_kernelIS7_f15HIP_vector_typeIdLj2EES9_SL_SG_EEvSC_SI_RKT3_T4_EUlifE_EEvlNS_15PhiloxCudaStateESH_SI_,"axG",@progbits,_ZN2at6native12_GLOBAL__N_143distribution_elementwise_grid_stride_kernelIfLi4EZNS0_9templates4cuda21uniform_and_transformIN3c104HalfEfPNS_17CUDAGeneratorImplEZZZNS4_16geometric_kernelIS9_EEvRNS_18TensorIteratorBaseEdT_ENKUlvE_clEvENKUlvE6_clEvEUlfE_EEvSC_T1_T2_EUlP25hiprandStatePhilox4_32_10E_ZNS1_27distribution_nullary_kernelIS7_f15HIP_vector_typeIdLj2EES9_SL_SG_EEvSC_SI_RKT3_T4_EUlifE_EEvlNS_15PhiloxCudaStateESH_SI_,comdat
	.globl	_ZN2at6native12_GLOBAL__N_143distribution_elementwise_grid_stride_kernelIfLi4EZNS0_9templates4cuda21uniform_and_transformIN3c104HalfEfPNS_17CUDAGeneratorImplEZZZNS4_16geometric_kernelIS9_EEvRNS_18TensorIteratorBaseEdT_ENKUlvE_clEvENKUlvE6_clEvEUlfE_EEvSC_T1_T2_EUlP25hiprandStatePhilox4_32_10E_ZNS1_27distribution_nullary_kernelIS7_f15HIP_vector_typeIdLj2EES9_SL_SG_EEvSC_SI_RKT3_T4_EUlifE_EEvlNS_15PhiloxCudaStateESH_SI_ ; -- Begin function _ZN2at6native12_GLOBAL__N_143distribution_elementwise_grid_stride_kernelIfLi4EZNS0_9templates4cuda21uniform_and_transformIN3c104HalfEfPNS_17CUDAGeneratorImplEZZZNS4_16geometric_kernelIS9_EEvRNS_18TensorIteratorBaseEdT_ENKUlvE_clEvENKUlvE6_clEvEUlfE_EEvSC_T1_T2_EUlP25hiprandStatePhilox4_32_10E_ZNS1_27distribution_nullary_kernelIS7_f15HIP_vector_typeIdLj2EES9_SL_SG_EEvSC_SI_RKT3_T4_EUlifE_EEvlNS_15PhiloxCudaStateESH_SI_
	.p2align	8
	.type	_ZN2at6native12_GLOBAL__N_143distribution_elementwise_grid_stride_kernelIfLi4EZNS0_9templates4cuda21uniform_and_transformIN3c104HalfEfPNS_17CUDAGeneratorImplEZZZNS4_16geometric_kernelIS9_EEvRNS_18TensorIteratorBaseEdT_ENKUlvE_clEvENKUlvE6_clEvEUlfE_EEvSC_T1_T2_EUlP25hiprandStatePhilox4_32_10E_ZNS1_27distribution_nullary_kernelIS7_f15HIP_vector_typeIdLj2EES9_SL_SG_EEvSC_SI_RKT3_T4_EUlifE_EEvlNS_15PhiloxCudaStateESH_SI_,@function
_ZN2at6native12_GLOBAL__N_143distribution_elementwise_grid_stride_kernelIfLi4EZNS0_9templates4cuda21uniform_and_transformIN3c104HalfEfPNS_17CUDAGeneratorImplEZZZNS4_16geometric_kernelIS9_EEvRNS_18TensorIteratorBaseEdT_ENKUlvE_clEvENKUlvE6_clEvEUlfE_EEvSC_T1_T2_EUlP25hiprandStatePhilox4_32_10E_ZNS1_27distribution_nullary_kernelIS7_f15HIP_vector_typeIdLj2EES9_SL_SG_EEvSC_SI_RKT3_T4_EUlifE_EEvlNS_15PhiloxCudaStateESH_SI_: ; @_ZN2at6native12_GLOBAL__N_143distribution_elementwise_grid_stride_kernelIfLi4EZNS0_9templates4cuda21uniform_and_transformIN3c104HalfEfPNS_17CUDAGeneratorImplEZZZNS4_16geometric_kernelIS9_EEvRNS_18TensorIteratorBaseEdT_ENKUlvE_clEvENKUlvE6_clEvEUlfE_EEvSC_T1_T2_EUlP25hiprandStatePhilox4_32_10E_ZNS1_27distribution_nullary_kernelIS7_f15HIP_vector_typeIdLj2EES9_SL_SG_EEvSC_SI_RKT3_T4_EUlifE_EEvlNS_15PhiloxCudaStateESH_SI_
; %bb.0:
	s_load_dword s2, s[4:5], 0x20
	s_load_dwordx2 s[0:1], s[4:5], 0x10
	s_load_dwordx4 s[8:11], s[4:5], 0x0
	s_waitcnt lgkmcnt(0)
	s_bitcmp0_b32 s2, 0
	s_mov_b32 s2, 0
	v_pk_mov_b32 v[2:3], s[0:1], s[0:1] op_sel:[0,1]
	v_pk_mov_b32 v[14:15], s[10:11], s[10:11] op_sel:[0,1]
	s_cbranch_scc1 .LBB28_2
; %bb.1:
	v_pk_mov_b32 v[2:3], s[0:1], s[0:1] op_sel:[0,1]
	flat_load_dwordx2 v[2:3], v[2:3]
	v_pk_mov_b32 v[4:5], s[10:11], s[10:11] op_sel:[0,1]
	flat_load_dwordx2 v[14:15], v[4:5]
	s_load_dwordx2 s[0:1], s[4:5], 0x18
	s_waitcnt lgkmcnt(0)
	v_mov_b32_e32 v1, s1
	s_waitcnt vmcnt(0)
	v_add_co_u32_e32 v2, vcc, s0, v2
	v_addc_co_u32_e32 v3, vcc, v3, v1, vcc
.LBB28_2:
	s_load_dword s0, s[4:5], 0x54
	s_load_dword s17, s[4:5], 0x48
	s_waitcnt lgkmcnt(0)
	s_and_b32 s7, s0, 0xffff
	s_add_u32 s10, s8, -1
	s_mul_i32 s12, s17, s7
	s_addc_u32 s3, s9, -1
	s_lshl_b32 s13, s12, 2
	s_cmp_lg_u64 s[2:3], 0
	s_mov_b64 s[0:1], -1
	s_cbranch_scc0 .LBB28_27
; %bb.3:
	v_cvt_f32_u32_e32 v1, s13
	v_cvt_f32_ubyte0_e32 v4, 0
	s_sub_u32 s2, 0, s13
	s_subb_u32 s11, 0, 0
	v_madmk_f32 v1, v4, 0x4f800000, v1
	v_rcp_f32_e32 v1, v1
	v_mul_f32_e32 v1, 0x5f7ffffc, v1
	v_mul_f32_e32 v4, 0x2f800000, v1
	v_trunc_f32_e32 v4, v4
	v_madmk_f32 v1, v4, 0xcf800000, v1
	v_cvt_u32_f32_e32 v4, v4
	v_cvt_u32_f32_e32 v1, v1
	v_readfirstlane_b32 s14, v4
	v_readfirstlane_b32 s15, v1
	s_mul_i32 s16, s2, s14
	s_mul_hi_u32 s19, s2, s15
	s_mul_i32 s18, s11, s15
	s_add_i32 s16, s19, s16
	s_add_i32 s16, s16, s18
	s_mul_i32 s20, s2, s15
	s_mul_hi_u32 s18, s15, s16
	s_mul_i32 s19, s15, s16
	s_mul_hi_u32 s15, s15, s20
	s_add_u32 s15, s15, s19
	s_addc_u32 s18, 0, s18
	s_mul_hi_u32 s21, s14, s20
	s_mul_i32 s20, s14, s20
	s_add_u32 s15, s15, s20
	s_mul_hi_u32 s19, s14, s16
	s_addc_u32 s15, s18, s21
	s_addc_u32 s18, s19, 0
	s_mul_i32 s16, s14, s16
	s_add_u32 s15, s15, s16
	s_addc_u32 s16, 0, s18
	v_add_co_u32_e32 v1, vcc, s15, v1
	s_cmp_lg_u64 vcc, 0
	s_addc_u32 s14, s14, s16
	v_readfirstlane_b32 s16, v1
	s_mul_i32 s15, s2, s14
	s_mul_hi_u32 s18, s2, s16
	s_add_i32 s15, s18, s15
	s_mul_i32 s11, s11, s16
	s_add_i32 s15, s15, s11
	s_mul_i32 s2, s2, s16
	s_mul_hi_u32 s18, s14, s2
	s_mul_i32 s19, s14, s2
	s_mul_i32 s21, s16, s15
	s_mul_hi_u32 s2, s16, s2
	s_mul_hi_u32 s20, s16, s15
	s_add_u32 s2, s2, s21
	s_addc_u32 s16, 0, s20
	s_add_u32 s2, s2, s19
	s_mul_hi_u32 s11, s14, s15
	s_addc_u32 s2, s16, s18
	s_addc_u32 s11, s11, 0
	s_mul_i32 s15, s14, s15
	s_add_u32 s2, s2, s15
	s_addc_u32 s11, 0, s11
	v_add_co_u32_e32 v1, vcc, s2, v1
	s_cmp_lg_u64 vcc, 0
	s_addc_u32 s11, s14, s11
	s_ashr_i32 s14, s3, 31
	s_add_u32 s2, s10, s14
	s_mov_b32 s15, s14
	s_addc_u32 s3, s3, s14
	s_xor_b64 s[2:3], s[2:3], s[14:15]
	v_readfirstlane_b32 s19, v1
	s_mul_i32 s18, s2, s11
	s_mul_hi_u32 s20, s2, s19
	s_mul_hi_u32 s16, s2, s11
	s_add_u32 s18, s20, s18
	s_addc_u32 s16, 0, s16
	s_mul_hi_u32 s21, s3, s19
	s_mul_i32 s19, s3, s19
	s_add_u32 s18, s18, s19
	s_mul_hi_u32 s20, s3, s11
	s_addc_u32 s16, s16, s21
	s_addc_u32 s18, s20, 0
	s_mul_i32 s11, s3, s11
	s_add_u32 s11, s16, s11
	s_addc_u32 s16, 0, s18
	s_add_u32 s18, s11, 1
	s_addc_u32 s19, s16, 0
	s_add_u32 s20, s11, 2
	s_mul_i32 s22, s13, s16
	s_mul_hi_u32 s23, s13, s11
	s_addc_u32 s21, s16, 0
	s_add_i32 s23, s23, s22
	s_mul_i32 s22, s13, s11
	v_mov_b32_e32 v1, s22
	v_sub_co_u32_e32 v1, vcc, s2, v1
	s_cmp_lg_u64 vcc, 0
	s_subb_u32 s2, s3, s23
	v_subrev_co_u32_e32 v4, vcc, s13, v1
	s_cmp_lg_u64 vcc, 0
	s_subb_u32 s3, s2, 0
	v_readfirstlane_b32 s22, v4
	s_cmp_ge_u32 s22, s13
	s_cselect_b32 s22, -1, 0
	s_cmp_eq_u32 s3, 0
	s_cselect_b32 s3, s22, -1
	s_cmp_lg_u32 s3, 0
	s_cselect_b32 s3, s21, s19
	v_readfirstlane_b32 s19, v1
	s_cselect_b32 s18, s20, s18
	s_cmp_ge_u32 s19, s13
	s_cselect_b32 s19, -1, 0
	s_cmp_eq_u32 s2, 0
	s_cselect_b32 s2, s19, -1
	s_cmp_lg_u32 s2, 0
	s_cselect_b32 s3, s3, s16
	s_cselect_b32 s2, s18, s11
	s_xor_b64 s[2:3], s[2:3], s[14:15]
	s_sub_u32 s2, s2, s14
	s_subb_u32 s3, s3, s14
	s_cbranch_execnz .LBB28_5
.LBB28_4:
	v_cvt_f32_u32_e32 v1, s13
	s_sub_i32 s0, 0, s13
	s_mov_b32 s3, 0
	v_rcp_iflag_f32_e32 v1, v1
	v_mul_f32_e32 v1, 0x4f7ffffe, v1
	v_cvt_u32_f32_e32 v1, v1
	v_readfirstlane_b32 s1, v1
	s_mul_i32 s0, s0, s1
	s_mul_hi_u32 s0, s1, s0
	s_add_i32 s1, s1, s0
	s_mul_hi_u32 s0, s10, s1
	s_mul_i32 s2, s0, s13
	s_sub_i32 s2, s10, s2
	s_add_i32 s1, s0, 1
	s_sub_i32 s10, s2, s13
	s_cmp_ge_u32 s2, s13
	s_cselect_b32 s0, s1, s0
	s_cselect_b32 s2, s10, s2
	s_add_i32 s1, s0, 1
	s_cmp_ge_u32 s2, s13
	s_cselect_b32 s2, s1, s0
.LBB28_5:
	v_mov_b32_e32 v1, 0
	v_mov_b32_e32 v4, s6
	v_mad_u64_u32 v[16:17], s[0:1], s7, v4, v[0:1]
	s_add_u32 s0, s2, 1
	s_addc_u32 s1, s3, 0
	s_mul_hi_u32 s2, s17, s7
	s_mul_i32 s1, s12, s1
	s_mul_hi_u32 s3, s12, s0
	s_add_i32 s1, s3, s1
	s_mul_i32 s2, s2, s0
	s_add_i32 s1, s1, s2
	s_mul_i32 s0, s12, s0
	s_lshl_b64 s[2:3], s[0:1], 2
	v_cmp_gt_i64_e32 vcc, s[2:3], v[16:17]
	s_and_saveexec_b64 s[0:1], vcc
	s_cbranch_execz .LBB28_26
; %bb.6:
	s_load_dwordx2 s[10:11], s[4:5], 0x30
	s_load_dword s25, s[4:5], 0x38
	s_load_dwordx2 s[0:1], s[4:5], 0x40
	s_mov_b32 s4, 0x5384540f
	v_mov_b32_e32 v4, v15
	v_add_co_u32_e32 v22, vcc, s4, v14
	s_mov_b32 s4, 0x646e171e
	v_add_co_u32_e32 v23, vcc, s4, v4
	s_mov_b32 s4, 0x1715609d
	;; [unrolled: 2-line block ×6, first 2 shown]
	v_alignbit_b32 v29, v3, v2, 2
	s_mov_b32 s15, 0xd2511f53
	v_add_co_u32_e32 v28, vcc, s4, v14
	v_mad_u64_u32 v[6:7], s[4:5], v29, s15, 0
	v_xor_b32_e32 v1, v7, v15
	v_xor_b32_e32 v1, v1, v17
	s_mov_b32 s16, 0xcd9e8d57
	v_mad_u64_u32 v[8:9], s[4:5], v1, s16, 0
	v_xor_b32_e32 v1, v28, v9
	v_mad_u64_u32 v[10:11], s[4:5], v16, s16, 0
	v_and_b32_e32 v18, 3, v2
	v_xor_b32_e32 v1, v1, v10
	v_xor_b32_e32 v2, v14, v11
	v_lshrrev_b32_e32 v30, 2, v3
	v_mad_u64_u32 v[12:13], s[4:5], v1, s15, 0
	v_xor_b32_e32 v2, v2, v30
	v_xor_b32_e32 v1, v27, v13
	v_mad_u64_u32 v[2:3], s[4:5], v2, s15, 0
	v_xor_b32_e32 v1, v1, v2
	v_mad_u64_u32 v[10:11], s[4:5], v1, s16, 0
	s_mov_b32 s4, 0xbb67ae85
	v_add_co_u32_e32 v31, vcc, s4, v4
	v_xor_b32_e32 v2, v31, v3
	v_xor_b32_e32 v2, v2, v6
	v_xor_b32_e32 v1, v26, v11
	v_mad_u64_u32 v[2:3], s[4:5], v2, s16, 0
	v_xor_b32_e32 v1, v1, v2
	v_mad_u64_u32 v[6:7], s[4:5], v1, s15, 0
	s_mov_b32 s4, 0x3c6ef372
	v_add_co_u32_e32 v32, vcc, s4, v14
	v_xor_b32_e32 v2, v32, v3
	;; [unrolled: 8-line block ×6, first 2 shown]
	v_add_co_u32_e32 v21, vcc, 0xdb3d7428, v4
	v_xor_b32_e32 v2, v2, v8
	v_xor_b32_e32 v1, v21, v41
	v_mad_u64_u32 v[2:3], s[4:5], v2, s15, 0
	v_xor_b32_e32 v1, v1, v2
	v_mad_u64_u32 v[8:9], s[4:5], v1, s16, 0
	s_mov_b32 s4, 0x1fd5c5a3
	v_add_co_u32_e32 v37, vcc, s4, v4
	v_xor_b32_e32 v1, v37, v3
	v_xor_b32_e32 v1, v1, v12
	v_mad_u64_u32 v[2:3], s[4:5], v1, s16, 0
	s_mov_b32 s4, 0xf1bbcdc8
	v_add_u32_e32 v19, 0x8ff34781, v14
	v_xor_b32_e32 v1, v9, v2
	v_add_co_u32_e32 v38, vcc, s4, v14
	v_xor_b32_e32 v2, v19, v1
	v_xor_b32_e32 v1, v38, v3
	;; [unrolled: 1-line block ×3, first 2 shown]
	v_mad_u64_u32 v[6:7], s[4:5], v1, s15, 0
	v_add_u32_e32 v20, 0x96a522ad, v15
	v_xor_b32_e32 v1, v7, v40
	v_xor_b32_e32 v4, v20, v1
	s_waitcnt lgkmcnt(0)
	v_cvt_f32_f64_e32 v1, s[0:1]
	v_sub_f32_e32 v5, 1.0, v1
	v_add_f32_e32 v7, -1.0, v5
	v_mov_b32_e32 v3, v8
	v_sub_f32_e32 v8, v7, v5
	v_add_f32_e32 v8, 1.0, v8
	v_sub_f32_e64 v7, -v1, v7
	v_add_f32_e32 v7, v7, v8
	v_frexp_mant_f32_e32 v10, v5
	s_mov_b32 s0, 0x3f2aaaab
	v_cvt_f64_f32_e32 v[8:9], v5
	v_frexp_exp_i32_f64_e32 v8, v[8:9]
	v_cmp_gt_f32_e32 vcc, s0, v10
	v_subbrev_co_u32_e32 v8, vcc, 0, v8, vcc
	v_sub_u32_e32 v9, 0, v8
	v_ldexp_f32 v5, v5, v9
	v_ldexp_f32 v7, v7, v9
	v_add_f32_e32 v9, -1.0, v5
	v_add_f32_e32 v12, 1.0, v5
	v_add_f32_e32 v10, 1.0, v9
	v_add_f32_e32 v13, -1.0, v12
	v_sub_f32_e32 v10, v5, v10
	v_sub_f32_e32 v5, v5, v13
	v_add_f32_e32 v5, v7, v5
	v_add_f32_e32 v10, v7, v10
	v_add_f32_e32 v7, v12, v5
	v_rcp_f32_e32 v13, v7
	v_add_f32_e32 v11, v9, v10
	v_sub_f32_e32 v9, v11, v9
	v_sub_f32_e32 v9, v10, v9
	;; [unrolled: 1-line block ×4, first 2 shown]
	v_mul_f32_e32 v10, v11, v13
	v_mul_f32_e32 v12, v7, v10
	v_fma_f32 v39, v10, v7, -v12
	v_fmac_f32_e32 v39, v10, v5
	v_add_f32_e32 v40, v12, v39
	v_sub_f32_e32 v41, v11, v40
	v_sub_f32_e32 v11, v11, v41
	;; [unrolled: 1-line block ×4, first 2 shown]
	v_add_f32_e32 v9, v9, v11
	v_sub_f32_e32 v11, v12, v39
	v_add_f32_e32 v9, v11, v9
	v_add_f32_e32 v11, v41, v9
	v_mul_f32_e32 v12, v13, v11
	v_mul_f32_e32 v39, v7, v12
	v_fma_f32 v7, v12, v7, -v39
	v_fmac_f32_e32 v7, v12, v5
	v_sub_f32_e32 v5, v41, v11
	v_add_f32_e32 v5, v9, v5
	v_add_f32_e32 v9, v39, v7
	v_sub_f32_e32 v40, v11, v9
	v_sub_f32_e32 v11, v11, v40
	;; [unrolled: 1-line block ×4, first 2 shown]
	v_add_f32_e32 v5, v5, v9
	v_sub_f32_e32 v7, v39, v7
	v_add_f32_e32 v5, v7, v5
	v_add_f32_e32 v7, v10, v12
	;; [unrolled: 1-line block ×3, first 2 shown]
	v_sub_f32_e32 v9, v7, v10
	v_mul_f32_e32 v5, v13, v5
	v_sub_f32_e32 v9, v12, v9
	v_add_f32_e32 v5, v9, v5
	v_cvt_f32_i32_e32 v8, v8
	v_add_f32_e32 v9, v7, v5
	v_mul_f32_e32 v10, v9, v9
	v_mov_b32_e32 v11, 0x3ecc95a3
	v_fmac_f32_e32 v11, 0x3e9b6dac, v10
	v_mov_b32_e32 v12, 0x3f2aaada
	v_fmac_f32_e32 v12, v10, v11
	s_mov_b32 s0, 0x3f317218
	v_mul_f32_e32 v11, 0x3f317218, v8
	v_fma_f32 v13, v8, s0, -v11
	v_fmac_f32_e32 v13, 0xb102e308, v8
	v_sub_f32_e32 v7, v9, v7
	v_sub_f32_e32 v5, v5, v7
	v_add_f32_e32 v7, v11, v13
	v_sub_f32_e32 v8, v7, v11
	v_ldexp_f32 v11, v9, 1
	v_mul_f32_e32 v9, v9, v10
	v_mul_f32_e32 v9, v9, v12
	v_add_f32_e32 v10, v11, v9
	v_sub_f32_e32 v11, v10, v11
	v_ldexp_f32 v5, v5, 1
	v_sub_f32_e32 v9, v9, v11
	v_add_f32_e32 v5, v5, v9
	v_add_f32_e32 v9, v10, v5
	v_sub_f32_e32 v10, v9, v10
	v_sub_f32_e32 v5, v5, v10
	v_add_f32_e32 v10, v7, v9
	v_sub_f32_e32 v11, v10, v7
	v_sub_f32_e32 v12, v10, v11
	;; [unrolled: 1-line block ×5, first 2 shown]
	v_add_f32_e32 v7, v9, v7
	v_add_f32_e32 v9, v8, v5
	v_sub_f32_e32 v11, v9, v8
	v_sub_f32_e32 v12, v9, v11
	;; [unrolled: 1-line block ×4, first 2 shown]
	v_add_f32_e32 v7, v9, v7
	v_add_f32_e32 v5, v5, v8
	;; [unrolled: 1-line block ×3, first 2 shown]
	v_sub_f32_e32 v9, v8, v10
	v_sub_f32_e32 v7, v7, v9
	v_add_f32_e32 v5, v5, v7
	s_mov_b32 s0, 0xff800000
	v_add_f32_e32 v5, v8, v5
	v_cmp_eq_f32_e32 vcc, s0, v1
	v_cndmask_b32_e64 v5, v5, -v1, vcc
	v_mov_b32_e32 v7, 0x7fc00000
	v_cmp_nlt_f32_e32 vcc, 1.0, v1
	v_cndmask_b32_e32 v5, v7, v5, vcc
	v_mov_b32_e32 v7, 0xff800000
	v_cmp_neq_f32_e32 vcc, 1.0, v1
	s_mov_b32 s0, 0x33800000
	v_cndmask_b32_e32 v5, v7, v5, vcc
	v_log_f32_e32 v7, s0
	v_cmp_lt_f32_e64 s[0:1], |v1|, s0
	v_cndmask_b32_e64 v39, v5, -v1, s[0:1]
	s_mov_b32 s18, 0x3f317217
	v_mul_f32_e32 v1, 0x3f317217, v7
	v_fma_f32 v5, v7, s18, -v1
	v_fmac_f32_e32 v5, 0x3377d1cf, v7
	s_mov_b32 s19, 0x7f800000
	v_add_f32_e32 v1, v1, v5
	v_cmp_lt_f32_e64 vcc, |v7|, s19
	v_cndmask_b32_e32 v1, v7, v1, vcc
	v_div_scale_f32 v7, s[0:1], v39, v39, v1
	v_rcp_f32_e32 v8, v7
	v_mov_b32_e32 v5, v6
	s_mul_i32 s0, s6, s7
	s_mov_b32 s14, 0
	v_fma_f32 v6, -v7, v8, 1.0
	v_fmac_f32_e32 v8, v6, v8
	v_div_scale_f32 v6, vcc, v1, v39, v1
	v_mul_f32_e32 v9, v6, v8
	v_fma_f32 v10, -v7, v9, v6
	v_fmac_f32_e32 v9, v10, v8
	v_fma_f32 v6, -v7, v9, v6
	v_div_fmas_f32 v6, v6, v8, v9
	v_div_fixup_f32 v1, v6, v39, v1
	v_ceil_f32_e32 v1, v1
	v_cvt_f16_f32_e32 v40, v1
	v_add_u32_e32 v1, s0, v0
	s_mul_i32 s0, s17, s25
	s_mul_i32 s0, s0, s7
	s_lshl_b32 s24, s0, 2
	s_mul_i32 s0, s17, 3
	s_add_i32 s0, s6, s0
	s_mul_i32 s0, s0, s7
	v_mul_lo_u32 v41, s25, v1
	v_add_u32_e32 v1, s0, v0
	s_lshl_b32 s0, s17, 1
	s_add_i32 s0, s6, s0
	s_mul_i32 s0, s0, s7
	v_mul_lo_u32 v42, s25, v1
	v_add_u32_e32 v1, s0, v0
	s_add_i32 s0, s6, s17
	s_mul_i32 s0, s0, s7
	v_add_u32_e32 v0, s0, v0
	s_lshl_b32 s20, s12, 1
	s_mov_b32 s21, s14
	s_mul_i32 s22, s12, 3
	s_mov_b32 s23, s14
	v_mul_lo_u32 v43, s25, v1
	v_mul_lo_u32 v44, s25, v0
	s_mov_b64 s[4:5], 0
	s_mov_b32 s17, 0x800000
	v_mov_b32_e32 v45, 0x4f800000
	v_mov_b32_e32 v46, 0x41b17218
	s_mov_b32 s25, s14
	v_mov_b32_e32 v47, v16
	v_mov_b32_e32 v48, v17
	s_branch .LBB28_8
.LBB28_7:                               ;   in Loop: Header=BB28_8 Depth=1
	s_or_b64 exec, exec, s[0:1]
	v_add_co_u32_e32 v16, vcc, s13, v16
	v_addc_co_u32_e32 v17, vcc, 0, v17, vcc
	v_mov_b32_e32 v9, v0
	s_add_i32 s25, s25, s24
	v_cmp_le_i64_e32 vcc, s[2:3], v[16:17]
	v_pk_mov_b32 v[2:3], v[6:7], v[6:7] op_sel:[0,1]
	s_or_b64 s[4:5], vcc, s[4:5]
	v_pk_mov_b32 v[4:5], v[8:9], v[8:9] op_sel:[0,1]
	s_barrier
	s_andn2_b64 exec, exec, s[4:5]
	s_cbranch_execz .LBB28_26
.LBB28_8:                               ; =>This Inner Loop Header: Depth=1
	v_add_co_u32_e32 v29, vcc, 1, v29
	v_cndmask_b32_e64 v0, 0, 1, vcc
	v_addc_co_u32_e32 v30, vcc, 0, v30, vcc
	v_cmp_eq_u32_e32 vcc, 0, v30
	v_cndmask_b32_e32 v0, 0, v0, vcc
	v_add_u32_e32 v47, v0, v47
	v_cmp_eq_u32_e32 vcc, 0, v47
	v_cndmask_b32_e32 v0, 0, v0, vcc
	v_add_u32_e32 v48, v0, v48
	v_mad_u64_u32 v[0:1], s[0:1], v29, s15, 0
	v_mad_u64_u32 v[6:7], s[0:1], v47, s16, 0
	v_xor_b32_e32 v1, v1, v15
	v_xor_b32_e32 v7, v7, v14
	v_xor_b32_e32 v1, v48, v1
	v_xor_b32_e32 v7, v30, v7
	v_mad_u64_u32 v[10:11], s[0:1], v1, s16, 0
	v_mad_u64_u32 v[8:9], s[0:1], v7, s15, 0
	v_xor_b32_e32 v1, v28, v11
	v_xor_b32_e32 v1, v1, v6
	v_xor_b32_e32 v6, v31, v9
	v_xor_b32_e32 v6, v6, v0
	;; [unrolled: 6-line block ×10, first 2 shown]
	v_mov_b32_e32 v7, v12
	v_mov_b32_e32 v8, v13
	v_cmp_lt_i32_e32 vcc, 1, v18
	s_and_saveexec_b64 s[0:1], vcc
	s_xor_b64 s[0:1], exec, s[0:1]
	s_cbranch_execnz .LBB28_18
; %bb.9:                                ;   in Loop: Header=BB28_8 Depth=1
	s_andn2_saveexec_b64 s[0:1], s[0:1]
	s_cbranch_execnz .LBB28_23
.LBB28_10:                              ;   in Loop: Header=BB28_8 Depth=1
	s_or_b64 exec, exec, s[0:1]
	v_cmp_gt_i64_e32 vcc, s[8:9], v[16:17]
	s_and_saveexec_b64 s[6:7], vcc
	s_cbranch_execz .LBB28_12
.LBB28_11:                              ;   in Loop: Header=BB28_8 Depth=1
	v_lshrrev_b32_e32 v1, 11, v3
	v_cvt_f64_u32_e32 v[10:11], v1
	v_ldexp_f64 v[10:11], v[10:11], 32
	v_cvt_f64_u32_e32 v[2:3], v2
	v_add_f64 v[2:3], v[10:11], v[2:3]
	v_mov_b32_e32 v10, 0
	v_mov_b32_e32 v11, 0x3ca00000
	v_fmac_f64_e32 v[10:11], 0x3ca00000, v[2:3]
	v_cvt_f32_f64_e32 v1, v[10:11]
	v_cmp_gt_f32_e32 vcc, s17, v1
	v_cndmask_b32_e32 v2, 1.0, v45, vcc
	v_mul_f32_e32 v1, v1, v2
	v_log_f32_e32 v1, v1
	v_add_u32_e32 v9, s25, v41
	v_ashrrev_i32_e32 v10, 31, v9
	v_mov_b32_e32 v11, s11
	v_mul_f32_e32 v2, 0x3f317217, v1
	v_fma_f32 v3, v1, s18, -v2
	v_fmac_f32_e32 v3, 0x3377d1cf, v1
	v_add_f32_e32 v2, v2, v3
	v_cmp_lt_f32_e64 s[0:1], |v1|, s19
	v_cndmask_b32_e64 v1, v1, v2, s[0:1]
	v_cndmask_b32_e32 v2, 0, v46, vcc
	v_sub_f32_e32 v1, v1, v2
	v_div_scale_f32 v2, s[0:1], v39, v39, v1
	v_rcp_f32_e32 v3, v2
	v_fma_f32 v12, -v2, v3, 1.0
	v_fmac_f32_e32 v3, v12, v3
	v_div_scale_f32 v12, vcc, v1, v39, v1
	v_mul_f32_e32 v13, v12, v3
	v_fma_f32 v49, -v2, v13, v12
	v_fmac_f32_e32 v13, v49, v3
	v_fma_f32 v2, -v2, v13, v12
	v_div_fmas_f32 v2, v2, v3, v13
	v_div_fixup_f32 v1, v2, v39, v1
	v_ceil_f32_e32 v1, v1
	v_cvt_f16_f32_e32 v1, v1
	v_add_co_u32_e32 v2, vcc, s10, v9
	v_addc_co_u32_e32 v3, vcc, v11, v10, vcc
	global_store_short v[2:3], v1, off
.LBB28_12:                              ;   in Loop: Header=BB28_8 Depth=1
	s_or_b64 exec, exec, s[6:7]
	v_mov_b32_e32 v1, s14
	v_add_co_u32_e32 v2, vcc, s12, v16
	v_addc_co_u32_e32 v3, vcc, v1, v17, vcc
	v_cmp_gt_i64_e32 vcc, s[8:9], v[2:3]
	s_and_saveexec_b64 s[6:7], vcc
	s_cbranch_execz .LBB28_14
; %bb.13:                               ;   in Loop: Header=BB28_8 Depth=1
	v_lshrrev_b32_e32 v1, 11, v5
	v_cvt_f64_u32_e32 v[2:3], v1
	v_ldexp_f64 v[2:3], v[2:3], 32
	v_cvt_f64_u32_e32 v[4:5], v4
	v_add_f64 v[2:3], v[2:3], v[4:5]
	v_mov_b32_e32 v4, 0
	v_mov_b32_e32 v5, 0x3ca00000
	v_fmac_f64_e32 v[4:5], 0x3ca00000, v[2:3]
	v_cvt_f32_f64_e32 v1, v[4:5]
	v_cmp_gt_f32_e32 vcc, s17, v1
	v_cndmask_b32_e32 v2, 1.0, v45, vcc
	v_mul_f32_e32 v1, v1, v2
	v_log_f32_e32 v1, v1
	v_add_u32_e32 v4, s25, v44
	v_ashrrev_i32_e32 v5, 31, v4
	v_mov_b32_e32 v9, s11
	v_mul_f32_e32 v2, 0x3f317217, v1
	v_fma_f32 v3, v1, s18, -v2
	v_fmac_f32_e32 v3, 0x3377d1cf, v1
	v_add_f32_e32 v2, v2, v3
	v_cmp_lt_f32_e64 s[0:1], |v1|, s19
	v_cndmask_b32_e64 v1, v1, v2, s[0:1]
	v_cndmask_b32_e32 v2, 0, v46, vcc
	v_sub_f32_e32 v1, v1, v2
	v_div_scale_f32 v2, s[0:1], v39, v39, v1
	v_rcp_f32_e32 v3, v2
	v_fma_f32 v10, -v2, v3, 1.0
	v_fmac_f32_e32 v3, v10, v3
	v_div_scale_f32 v10, vcc, v1, v39, v1
	v_mul_f32_e32 v11, v10, v3
	v_fma_f32 v12, -v2, v11, v10
	v_fmac_f32_e32 v11, v12, v3
	v_fma_f32 v2, -v2, v11, v10
	v_div_fmas_f32 v2, v2, v3, v11
	v_div_fixup_f32 v1, v2, v39, v1
	v_ceil_f32_e32 v1, v1
	v_cvt_f16_f32_e32 v1, v1
	v_add_co_u32_e32 v2, vcc, s10, v4
	v_addc_co_u32_e32 v3, vcc, v9, v5, vcc
	global_store_short v[2:3], v1, off
.LBB28_14:                              ;   in Loop: Header=BB28_8 Depth=1
	s_or_b64 exec, exec, s[6:7]
	v_mov_b32_e32 v1, s21
	v_add_co_u32_e32 v2, vcc, s20, v16
	v_addc_co_u32_e32 v3, vcc, v1, v17, vcc
	v_cmp_gt_i64_e32 vcc, s[8:9], v[2:3]
	s_and_saveexec_b64 s[0:1], vcc
	s_cbranch_execz .LBB28_16
; %bb.15:                               ;   in Loop: Header=BB28_8 Depth=1
	v_add_u32_e32 v1, s25, v43
	v_ashrrev_i32_e32 v3, 31, v1
	v_mov_b32_e32 v4, s11
	v_add_co_u32_e32 v2, vcc, s10, v1
	v_addc_co_u32_e32 v3, vcc, v4, v3, vcc
	global_store_short v[2:3], v40, off
.LBB28_16:                              ;   in Loop: Header=BB28_8 Depth=1
	s_or_b64 exec, exec, s[0:1]
	v_mov_b32_e32 v1, s23
	v_add_co_u32_e32 v2, vcc, s22, v16
	v_addc_co_u32_e32 v3, vcc, v1, v17, vcc
	v_cmp_gt_i64_e32 vcc, s[8:9], v[2:3]
	s_and_saveexec_b64 s[0:1], vcc
	s_cbranch_execz .LBB28_7
; %bb.17:                               ;   in Loop: Header=BB28_8 Depth=1
	v_add_u32_e32 v1, s25, v42
	v_ashrrev_i32_e32 v3, 31, v1
	v_mov_b32_e32 v4, s11
	v_add_co_u32_e32 v2, vcc, s10, v1
	v_addc_co_u32_e32 v3, vcc, v4, v3, vcc
	global_store_short v[2:3], v40, off
	s_branch .LBB28_7
.LBB28_18:                              ;   in Loop: Header=BB28_8 Depth=1
	v_cmp_lt_i32_e32 vcc, 2, v18
	s_and_saveexec_b64 s[6:7], vcc
	s_xor_b64 s[6:7], exec, s[6:7]
; %bb.19:                               ;   in Loop: Header=BB28_8 Depth=1
	v_mov_b32_e32 v10, v5
	v_mov_b32_e32 v11, v6
	v_pk_mov_b32 v[2:3], v[10:11], v[10:11] op_sel:[0,1]
	v_pk_mov_b32 v[4:5], v[12:13], v[12:13] op_sel:[0,1]
                                        ; implicit-def: $vgpr12_vgpr13
; %bb.20:                               ;   in Loop: Header=BB28_8 Depth=1
	s_andn2_saveexec_b64 s[6:7], s[6:7]
; %bb.21:                               ;   in Loop: Header=BB28_8 Depth=1
	v_mov_b32_e32 v2, v4
	v_mov_b32_e32 v3, v5
	;; [unrolled: 1-line block ×4, first 2 shown]
; %bb.22:                               ;   in Loop: Header=BB28_8 Depth=1
	s_or_b64 exec, exec, s[6:7]
	s_andn2_saveexec_b64 s[0:1], s[0:1]
	s_cbranch_execz .LBB28_10
.LBB28_23:                              ;   in Loop: Header=BB28_8 Depth=1
	v_cmp_eq_u32_e32 vcc, 1, v18
	s_and_saveexec_b64 s[6:7], vcc
; %bb.24:                               ;   in Loop: Header=BB28_8 Depth=1
	v_mov_b32_e32 v2, v3
	v_mov_b32_e32 v3, v4
	;; [unrolled: 1-line block ×4, first 2 shown]
; %bb.25:                               ;   in Loop: Header=BB28_8 Depth=1
	s_or_b64 exec, exec, s[6:7]
	s_or_b64 exec, exec, s[0:1]
	v_cmp_gt_i64_e32 vcc, s[8:9], v[16:17]
	s_and_saveexec_b64 s[6:7], vcc
	s_cbranch_execnz .LBB28_11
	s_branch .LBB28_12
.LBB28_26:
	s_endpgm
.LBB28_27:
                                        ; implicit-def: $sgpr2_sgpr3
	s_andn2_b64 vcc, exec, s[0:1]
	s_cbranch_vccz .LBB28_4
	s_branch .LBB28_5
	.section	.rodata,"a",@progbits
	.p2align	6, 0x0
	.amdhsa_kernel _ZN2at6native12_GLOBAL__N_143distribution_elementwise_grid_stride_kernelIfLi4EZNS0_9templates4cuda21uniform_and_transformIN3c104HalfEfPNS_17CUDAGeneratorImplEZZZNS4_16geometric_kernelIS9_EEvRNS_18TensorIteratorBaseEdT_ENKUlvE_clEvENKUlvE6_clEvEUlfE_EEvSC_T1_T2_EUlP25hiprandStatePhilox4_32_10E_ZNS1_27distribution_nullary_kernelIS7_f15HIP_vector_typeIdLj2EES9_SL_SG_EEvSC_SI_RKT3_T4_EUlifE_EEvlNS_15PhiloxCudaStateESH_SI_
		.amdhsa_group_segment_fixed_size 0
		.amdhsa_private_segment_fixed_size 0
		.amdhsa_kernarg_size 328
		.amdhsa_user_sgpr_count 6
		.amdhsa_user_sgpr_private_segment_buffer 1
		.amdhsa_user_sgpr_dispatch_ptr 0
		.amdhsa_user_sgpr_queue_ptr 0
		.amdhsa_user_sgpr_kernarg_segment_ptr 1
		.amdhsa_user_sgpr_dispatch_id 0
		.amdhsa_user_sgpr_flat_scratch_init 0
		.amdhsa_user_sgpr_kernarg_preload_length 0
		.amdhsa_user_sgpr_kernarg_preload_offset 0
		.amdhsa_user_sgpr_private_segment_size 0
		.amdhsa_uses_dynamic_stack 0
		.amdhsa_system_sgpr_private_segment_wavefront_offset 0
		.amdhsa_system_sgpr_workgroup_id_x 1
		.amdhsa_system_sgpr_workgroup_id_y 0
		.amdhsa_system_sgpr_workgroup_id_z 0
		.amdhsa_system_sgpr_workgroup_info 0
		.amdhsa_system_vgpr_workitem_id 0
		.amdhsa_next_free_vgpr 52
		.amdhsa_next_free_sgpr 26
		.amdhsa_accum_offset 52
		.amdhsa_reserve_vcc 1
		.amdhsa_reserve_flat_scratch 0
		.amdhsa_float_round_mode_32 0
		.amdhsa_float_round_mode_16_64 0
		.amdhsa_float_denorm_mode_32 3
		.amdhsa_float_denorm_mode_16_64 3
		.amdhsa_dx10_clamp 1
		.amdhsa_ieee_mode 1
		.amdhsa_fp16_overflow 0
		.amdhsa_tg_split 0
		.amdhsa_exception_fp_ieee_invalid_op 0
		.amdhsa_exception_fp_denorm_src 0
		.amdhsa_exception_fp_ieee_div_zero 0
		.amdhsa_exception_fp_ieee_overflow 0
		.amdhsa_exception_fp_ieee_underflow 0
		.amdhsa_exception_fp_ieee_inexact 0
		.amdhsa_exception_int_div_zero 0
	.end_amdhsa_kernel
	.section	.text._ZN2at6native12_GLOBAL__N_143distribution_elementwise_grid_stride_kernelIfLi4EZNS0_9templates4cuda21uniform_and_transformIN3c104HalfEfPNS_17CUDAGeneratorImplEZZZNS4_16geometric_kernelIS9_EEvRNS_18TensorIteratorBaseEdT_ENKUlvE_clEvENKUlvE6_clEvEUlfE_EEvSC_T1_T2_EUlP25hiprandStatePhilox4_32_10E_ZNS1_27distribution_nullary_kernelIS7_f15HIP_vector_typeIdLj2EES9_SL_SG_EEvSC_SI_RKT3_T4_EUlifE_EEvlNS_15PhiloxCudaStateESH_SI_,"axG",@progbits,_ZN2at6native12_GLOBAL__N_143distribution_elementwise_grid_stride_kernelIfLi4EZNS0_9templates4cuda21uniform_and_transformIN3c104HalfEfPNS_17CUDAGeneratorImplEZZZNS4_16geometric_kernelIS9_EEvRNS_18TensorIteratorBaseEdT_ENKUlvE_clEvENKUlvE6_clEvEUlfE_EEvSC_T1_T2_EUlP25hiprandStatePhilox4_32_10E_ZNS1_27distribution_nullary_kernelIS7_f15HIP_vector_typeIdLj2EES9_SL_SG_EEvSC_SI_RKT3_T4_EUlifE_EEvlNS_15PhiloxCudaStateESH_SI_,comdat
.Lfunc_end28:
	.size	_ZN2at6native12_GLOBAL__N_143distribution_elementwise_grid_stride_kernelIfLi4EZNS0_9templates4cuda21uniform_and_transformIN3c104HalfEfPNS_17CUDAGeneratorImplEZZZNS4_16geometric_kernelIS9_EEvRNS_18TensorIteratorBaseEdT_ENKUlvE_clEvENKUlvE6_clEvEUlfE_EEvSC_T1_T2_EUlP25hiprandStatePhilox4_32_10E_ZNS1_27distribution_nullary_kernelIS7_f15HIP_vector_typeIdLj2EES9_SL_SG_EEvSC_SI_RKT3_T4_EUlifE_EEvlNS_15PhiloxCudaStateESH_SI_, .Lfunc_end28-_ZN2at6native12_GLOBAL__N_143distribution_elementwise_grid_stride_kernelIfLi4EZNS0_9templates4cuda21uniform_and_transformIN3c104HalfEfPNS_17CUDAGeneratorImplEZZZNS4_16geometric_kernelIS9_EEvRNS_18TensorIteratorBaseEdT_ENKUlvE_clEvENKUlvE6_clEvEUlfE_EEvSC_T1_T2_EUlP25hiprandStatePhilox4_32_10E_ZNS1_27distribution_nullary_kernelIS7_f15HIP_vector_typeIdLj2EES9_SL_SG_EEvSC_SI_RKT3_T4_EUlifE_EEvlNS_15PhiloxCudaStateESH_SI_
                                        ; -- End function
	.section	.AMDGPU.csdata,"",@progbits
; Kernel info:
; codeLenInByte = 3480
; NumSgprs: 30
; NumVgprs: 52
; NumAgprs: 0
; TotalNumVgprs: 52
; ScratchSize: 0
; MemoryBound: 0
; FloatMode: 240
; IeeeMode: 1
; LDSByteSize: 0 bytes/workgroup (compile time only)
; SGPRBlocks: 3
; VGPRBlocks: 6
; NumSGPRsForWavesPerEU: 30
; NumVGPRsForWavesPerEU: 52
; AccumOffset: 52
; Occupancy: 8
; WaveLimiterHint : 0
; COMPUTE_PGM_RSRC2:SCRATCH_EN: 0
; COMPUTE_PGM_RSRC2:USER_SGPR: 6
; COMPUTE_PGM_RSRC2:TRAP_HANDLER: 0
; COMPUTE_PGM_RSRC2:TGID_X_EN: 1
; COMPUTE_PGM_RSRC2:TGID_Y_EN: 0
; COMPUTE_PGM_RSRC2:TGID_Z_EN: 0
; COMPUTE_PGM_RSRC2:TIDIG_COMP_CNT: 0
; COMPUTE_PGM_RSRC3_GFX90A:ACCUM_OFFSET: 12
; COMPUTE_PGM_RSRC3_GFX90A:TG_SPLIT: 0
	.section	.text._ZN2at6native12_GLOBAL__N_143distribution_elementwise_grid_stride_kernelIfLi4EZNS0_9templates4cuda21uniform_and_transformIN3c104HalfEfPNS_17CUDAGeneratorImplEZZZNS4_16geometric_kernelIS9_EEvRNS_18TensorIteratorBaseEdT_ENKUlvE_clEvENKUlvE6_clEvEUlfE_EEvSC_T1_T2_EUlP25hiprandStatePhilox4_32_10E_ZNS1_27distribution_nullary_kernelIS7_f15HIP_vector_typeIdLj2EES9_SL_SG_EEvSC_SI_RKT3_T4_EUlifE0_EEvlNS_15PhiloxCudaStateESH_SI_,"axG",@progbits,_ZN2at6native12_GLOBAL__N_143distribution_elementwise_grid_stride_kernelIfLi4EZNS0_9templates4cuda21uniform_and_transformIN3c104HalfEfPNS_17CUDAGeneratorImplEZZZNS4_16geometric_kernelIS9_EEvRNS_18TensorIteratorBaseEdT_ENKUlvE_clEvENKUlvE6_clEvEUlfE_EEvSC_T1_T2_EUlP25hiprandStatePhilox4_32_10E_ZNS1_27distribution_nullary_kernelIS7_f15HIP_vector_typeIdLj2EES9_SL_SG_EEvSC_SI_RKT3_T4_EUlifE0_EEvlNS_15PhiloxCudaStateESH_SI_,comdat
	.globl	_ZN2at6native12_GLOBAL__N_143distribution_elementwise_grid_stride_kernelIfLi4EZNS0_9templates4cuda21uniform_and_transformIN3c104HalfEfPNS_17CUDAGeneratorImplEZZZNS4_16geometric_kernelIS9_EEvRNS_18TensorIteratorBaseEdT_ENKUlvE_clEvENKUlvE6_clEvEUlfE_EEvSC_T1_T2_EUlP25hiprandStatePhilox4_32_10E_ZNS1_27distribution_nullary_kernelIS7_f15HIP_vector_typeIdLj2EES9_SL_SG_EEvSC_SI_RKT3_T4_EUlifE0_EEvlNS_15PhiloxCudaStateESH_SI_ ; -- Begin function _ZN2at6native12_GLOBAL__N_143distribution_elementwise_grid_stride_kernelIfLi4EZNS0_9templates4cuda21uniform_and_transformIN3c104HalfEfPNS_17CUDAGeneratorImplEZZZNS4_16geometric_kernelIS9_EEvRNS_18TensorIteratorBaseEdT_ENKUlvE_clEvENKUlvE6_clEvEUlfE_EEvSC_T1_T2_EUlP25hiprandStatePhilox4_32_10E_ZNS1_27distribution_nullary_kernelIS7_f15HIP_vector_typeIdLj2EES9_SL_SG_EEvSC_SI_RKT3_T4_EUlifE0_EEvlNS_15PhiloxCudaStateESH_SI_
	.p2align	8
	.type	_ZN2at6native12_GLOBAL__N_143distribution_elementwise_grid_stride_kernelIfLi4EZNS0_9templates4cuda21uniform_and_transformIN3c104HalfEfPNS_17CUDAGeneratorImplEZZZNS4_16geometric_kernelIS9_EEvRNS_18TensorIteratorBaseEdT_ENKUlvE_clEvENKUlvE6_clEvEUlfE_EEvSC_T1_T2_EUlP25hiprandStatePhilox4_32_10E_ZNS1_27distribution_nullary_kernelIS7_f15HIP_vector_typeIdLj2EES9_SL_SG_EEvSC_SI_RKT3_T4_EUlifE0_EEvlNS_15PhiloxCudaStateESH_SI_,@function
_ZN2at6native12_GLOBAL__N_143distribution_elementwise_grid_stride_kernelIfLi4EZNS0_9templates4cuda21uniform_and_transformIN3c104HalfEfPNS_17CUDAGeneratorImplEZZZNS4_16geometric_kernelIS9_EEvRNS_18TensorIteratorBaseEdT_ENKUlvE_clEvENKUlvE6_clEvEUlfE_EEvSC_T1_T2_EUlP25hiprandStatePhilox4_32_10E_ZNS1_27distribution_nullary_kernelIS7_f15HIP_vector_typeIdLj2EES9_SL_SG_EEvSC_SI_RKT3_T4_EUlifE0_EEvlNS_15PhiloxCudaStateESH_SI_: ; @_ZN2at6native12_GLOBAL__N_143distribution_elementwise_grid_stride_kernelIfLi4EZNS0_9templates4cuda21uniform_and_transformIN3c104HalfEfPNS_17CUDAGeneratorImplEZZZNS4_16geometric_kernelIS9_EEvRNS_18TensorIteratorBaseEdT_ENKUlvE_clEvENKUlvE6_clEvEUlfE_EEvSC_T1_T2_EUlP25hiprandStatePhilox4_32_10E_ZNS1_27distribution_nullary_kernelIS7_f15HIP_vector_typeIdLj2EES9_SL_SG_EEvSC_SI_RKT3_T4_EUlifE0_EEvlNS_15PhiloxCudaStateESH_SI_
; %bb.0:
	s_load_dword s2, s[4:5], 0x20
	s_load_dwordx2 s[0:1], s[4:5], 0x10
	s_load_dwordx4 s[24:27], s[4:5], 0x0
	s_waitcnt lgkmcnt(0)
	s_bitcmp0_b32 s2, 0
	s_mov_b32 s2, 0
	v_pk_mov_b32 v[2:3], s[0:1], s[0:1] op_sel:[0,1]
	v_pk_mov_b32 v[10:11], s[26:27], s[26:27] op_sel:[0,1]
	s_cbranch_scc1 .LBB29_2
; %bb.1:
	v_pk_mov_b32 v[2:3], s[0:1], s[0:1] op_sel:[0,1]
	flat_load_dwordx2 v[2:3], v[2:3]
	v_pk_mov_b32 v[4:5], s[26:27], s[26:27] op_sel:[0,1]
	flat_load_dwordx2 v[10:11], v[4:5]
	s_load_dwordx2 s[0:1], s[4:5], 0x18
	s_waitcnt lgkmcnt(0)
	v_mov_b32_e32 v1, s1
	s_waitcnt vmcnt(0)
	v_add_co_u32_e32 v2, vcc, s0, v2
	v_addc_co_u32_e32 v3, vcc, v3, v1, vcc
.LBB29_2:
	s_load_dword s0, s[4:5], 0x154
	s_load_dword s7, s[4:5], 0x148
	s_waitcnt lgkmcnt(0)
	s_and_b32 s8, s0, 0xffff
	s_add_u32 s9, s24, -1
	s_mul_i32 s33, s7, s8
	s_addc_u32 s3, s25, -1
	s_lshl_b32 s58, s33, 2
	s_cmp_lg_u64 s[2:3], 0
	s_mov_b64 s[0:1], -1
	s_cbranch_scc0 .LBB29_83
; %bb.3:
	v_cvt_f32_u32_e32 v1, s58
	v_cvt_f32_ubyte0_e32 v4, 0
	s_sub_u32 s2, 0, s58
	s_subb_u32 s10, 0, 0
	v_madmk_f32 v1, v4, 0x4f800000, v1
	v_rcp_f32_e32 v1, v1
	v_mul_f32_e32 v1, 0x5f7ffffc, v1
	v_mul_f32_e32 v4, 0x2f800000, v1
	v_trunc_f32_e32 v4, v4
	v_madmk_f32 v1, v4, 0xcf800000, v1
	v_cvt_u32_f32_e32 v4, v4
	v_cvt_u32_f32_e32 v1, v1
	v_readfirstlane_b32 s11, v4
	v_readfirstlane_b32 s12, v1
	s_mul_i32 s13, s2, s11
	s_mul_hi_u32 s15, s2, s12
	s_mul_i32 s14, s10, s12
	s_add_i32 s13, s15, s13
	s_add_i32 s13, s13, s14
	s_mul_i32 s16, s2, s12
	s_mul_hi_u32 s14, s12, s13
	s_mul_i32 s15, s12, s13
	s_mul_hi_u32 s12, s12, s16
	s_add_u32 s12, s12, s15
	s_addc_u32 s14, 0, s14
	s_mul_hi_u32 s17, s11, s16
	s_mul_i32 s16, s11, s16
	s_add_u32 s12, s12, s16
	s_mul_hi_u32 s15, s11, s13
	s_addc_u32 s12, s14, s17
	s_addc_u32 s14, s15, 0
	s_mul_i32 s13, s11, s13
	s_add_u32 s12, s12, s13
	s_addc_u32 s13, 0, s14
	v_add_co_u32_e32 v1, vcc, s12, v1
	s_cmp_lg_u64 vcc, 0
	s_addc_u32 s11, s11, s13
	v_readfirstlane_b32 s13, v1
	s_mul_i32 s12, s2, s11
	s_mul_hi_u32 s14, s2, s13
	s_add_i32 s12, s14, s12
	s_mul_i32 s10, s10, s13
	s_add_i32 s12, s12, s10
	s_mul_i32 s2, s2, s13
	s_mul_hi_u32 s14, s11, s2
	s_mul_i32 s15, s11, s2
	s_mul_i32 s17, s13, s12
	s_mul_hi_u32 s2, s13, s2
	s_mul_hi_u32 s16, s13, s12
	s_add_u32 s2, s2, s17
	s_addc_u32 s13, 0, s16
	s_add_u32 s2, s2, s15
	s_mul_hi_u32 s10, s11, s12
	s_addc_u32 s2, s13, s14
	s_addc_u32 s10, s10, 0
	s_mul_i32 s12, s11, s12
	s_add_u32 s2, s2, s12
	s_addc_u32 s10, 0, s10
	v_add_co_u32_e32 v1, vcc, s2, v1
	s_cmp_lg_u64 vcc, 0
	s_addc_u32 s12, s11, s10
	s_ashr_i32 s10, s3, 31
	s_add_u32 s2, s9, s10
	s_mov_b32 s11, s10
	s_addc_u32 s3, s3, s10
	s_xor_b64 s[2:3], s[2:3], s[10:11]
	v_readfirstlane_b32 s15, v1
	s_mul_i32 s14, s2, s12
	s_mul_hi_u32 s16, s2, s15
	s_mul_hi_u32 s13, s2, s12
	s_add_u32 s14, s16, s14
	s_addc_u32 s13, 0, s13
	s_mul_hi_u32 s17, s3, s15
	s_mul_i32 s15, s3, s15
	s_add_u32 s14, s14, s15
	s_mul_hi_u32 s16, s3, s12
	s_addc_u32 s13, s13, s17
	s_addc_u32 s14, s16, 0
	s_mul_i32 s12, s3, s12
	s_add_u32 s12, s13, s12
	s_addc_u32 s13, 0, s14
	s_add_u32 s14, s12, 1
	s_addc_u32 s15, s13, 0
	s_add_u32 s16, s12, 2
	s_mul_i32 s18, s58, s13
	s_mul_hi_u32 s19, s58, s12
	s_addc_u32 s17, s13, 0
	s_add_i32 s19, s19, s18
	s_mul_i32 s18, s58, s12
	v_mov_b32_e32 v1, s18
	v_sub_co_u32_e32 v1, vcc, s2, v1
	s_cmp_lg_u64 vcc, 0
	s_subb_u32 s2, s3, s19
	v_subrev_co_u32_e32 v4, vcc, s58, v1
	s_cmp_lg_u64 vcc, 0
	s_subb_u32 s3, s2, 0
	v_readfirstlane_b32 s18, v4
	s_cmp_ge_u32 s18, s58
	s_cselect_b32 s18, -1, 0
	s_cmp_eq_u32 s3, 0
	s_cselect_b32 s3, s18, -1
	s_cmp_lg_u32 s3, 0
	s_cselect_b32 s3, s17, s15
	v_readfirstlane_b32 s15, v1
	s_cselect_b32 s14, s16, s14
	s_cmp_ge_u32 s15, s58
	s_cselect_b32 s15, -1, 0
	s_cmp_eq_u32 s2, 0
	s_cselect_b32 s2, s15, -1
	s_cmp_lg_u32 s2, 0
	s_cselect_b32 s3, s3, s13
	s_cselect_b32 s2, s14, s12
	s_xor_b64 s[2:3], s[2:3], s[10:11]
	s_sub_u32 s2, s2, s10
	s_subb_u32 s3, s3, s10
	s_cbranch_execnz .LBB29_5
.LBB29_4:
	v_cvt_f32_u32_e32 v1, s58
	s_sub_i32 s0, 0, s58
	s_mov_b32 s3, 0
	v_rcp_iflag_f32_e32 v1, v1
	v_mul_f32_e32 v1, 0x4f7ffffe, v1
	v_cvt_u32_f32_e32 v1, v1
	v_readfirstlane_b32 s1, v1
	s_mul_i32 s0, s0, s1
	s_mul_hi_u32 s0, s1, s0
	s_add_i32 s1, s1, s0
	s_mul_hi_u32 s0, s9, s1
	s_mul_i32 s2, s0, s58
	s_sub_i32 s2, s9, s2
	s_add_i32 s1, s0, 1
	s_sub_i32 s9, s2, s58
	s_cmp_ge_u32 s2, s58
	s_cselect_b32 s0, s1, s0
	s_cselect_b32 s2, s9, s2
	s_add_i32 s1, s0, 1
	s_cmp_ge_u32 s2, s58
	s_cselect_b32 s2, s1, s0
.LBB29_5:
	v_mov_b32_e32 v1, 0
	v_mov_b32_e32 v4, s6
	v_mad_u64_u32 v[12:13], s[0:1], s8, v4, v[0:1]
	s_add_u32 s0, s2, 1
	s_addc_u32 s1, s3, 0
	s_mul_hi_u32 s2, s7, s8
	s_mul_i32 s1, s33, s1
	s_mul_hi_u32 s3, s33, s0
	s_add_i32 s1, s3, s1
	s_mul_i32 s2, s2, s0
	s_add_i32 s1, s1, s2
	s_mul_i32 s0, s33, s0
	s_lshl_b64 s[26:27], s[0:1], 2
	v_cmp_gt_i64_e32 vcc, s[26:27], v[12:13]
	s_and_saveexec_b64 s[0:1], vcc
	s_cbranch_execz .LBB29_82
; %bb.6:
	s_mov_b32 s0, 0x5384540f
	v_mov_b32_e32 v0, v11
	v_add_co_u32_e32 v20, vcc, s0, v10
	s_mov_b32 s0, 0x646e171e
	v_add_co_u32_e32 v21, vcc, s0, v0
	s_mov_b32 s0, 0x1715609d
	;; [unrolled: 2-line block ×6, first 2 shown]
	v_alignbit_b32 v27, v3, v2, 2
	s_mov_b32 s60, 0xd2511f53
	v_add_co_u32_e32 v26, vcc, s0, v10
	v_mad_u64_u32 v[4:5], s[0:1], v27, s60, 0
	v_xor_b32_e32 v1, v5, v11
	v_xor_b32_e32 v1, v1, v13
	s_mov_b32 s61, 0xcd9e8d57
	v_mad_u64_u32 v[6:7], s[0:1], v1, s61, 0
	v_xor_b32_e32 v1, v26, v7
	v_mad_u64_u32 v[8:9], s[0:1], v12, s61, 0
	v_and_b32_e32 v16, 3, v2
	v_xor_b32_e32 v1, v1, v8
	v_xor_b32_e32 v2, v10, v9
	v_lshrrev_b32_e32 v28, 2, v3
	v_mad_u64_u32 v[14:15], s[0:1], v1, s60, 0
	v_xor_b32_e32 v2, v2, v28
	v_xor_b32_e32 v1, v25, v15
	v_mad_u64_u32 v[2:3], s[0:1], v2, s60, 0
	v_xor_b32_e32 v1, v1, v2
	v_mad_u64_u32 v[8:9], s[0:1], v1, s61, 0
	s_mov_b32 s0, 0xbb67ae85
	v_add_co_u32_e32 v29, vcc, s0, v0
	v_xor_b32_e32 v2, v29, v3
	v_xor_b32_e32 v2, v2, v4
	v_xor_b32_e32 v1, v24, v9
	v_mad_u64_u32 v[2:3], s[0:1], v2, s61, 0
	v_xor_b32_e32 v1, v1, v2
	v_mad_u64_u32 v[4:5], s[0:1], v1, s60, 0
	s_mov_b32 s0, 0x3c6ef372
	v_add_co_u32_e32 v30, vcc, s0, v10
	v_xor_b32_e32 v2, v30, v3
	;; [unrolled: 8-line block ×6, first 2 shown]
	v_add_co_u32_e32 v19, vcc, 0xdb3d7428, v0
	v_xor_b32_e32 v2, v2, v6
	v_xor_b32_e32 v1, v19, v39
	v_mad_u64_u32 v[2:3], s[0:1], v2, s60, 0
	v_xor_b32_e32 v1, v1, v2
	v_mad_u64_u32 v[40:41], s[0:1], v1, s61, 0
	s_mov_b32 s0, 0x1fd5c5a3
	v_add_co_u32_e32 v35, vcc, s0, v0
	v_xor_b32_e32 v0, v35, v3
	v_xor_b32_e32 v0, v0, v14
	s_load_dwordx2 s[46:47], s[4:5], 0xf4
	s_load_dwordx4 s[28:31], s[4:5], 0x138
	v_mad_u64_u32 v[0:1], s[0:1], v0, s61, 0
	s_mov_b32 s0, 0xf1bbcdc8
	v_add_u32_e32 v17, 0x8ff34781, v10
	v_xor_b32_e32 v0, v41, v0
	v_add_co_u32_e32 v36, vcc, s0, v10
	v_xor_b32_e32 v4, v17, v0
	v_xor_b32_e32 v0, v36, v1
	;; [unrolled: 1-line block ×3, first 2 shown]
	s_waitcnt lgkmcnt(0)
	v_cvt_f32_f64_e32 v2, s[30:31]
	v_mad_u64_u32 v[0:1], s[0:1], v0, s60, 0
	v_sub_f32_e32 v3, 1.0, v2
	v_add_u32_e32 v18, 0x96a522ad, v11
	v_xor_b32_e32 v1, v1, v38
	v_mov_b32_e32 v7, v0
	v_add_f32_e32 v0, -1.0, v3
	v_xor_b32_e32 v6, v18, v1
	v_sub_f32_e32 v1, v0, v3
	v_add_f32_e32 v1, 1.0, v1
	v_sub_f32_e64 v0, -v2, v0
	v_add_f32_e32 v8, v0, v1
	v_frexp_mant_f32_e32 v9, v3
	s_mov_b32 s2, 0x3f2aaaab
	v_cvt_f64_f32_e32 v[0:1], v3
	v_frexp_exp_i32_f64_e32 v0, v[0:1]
	v_cmp_gt_f32_e32 vcc, s2, v9
	v_subbrev_co_u32_e32 v0, vcc, 0, v0, vcc
	v_sub_u32_e32 v1, 0, v0
	v_ldexp_f32 v3, v3, v1
	v_ldexp_f32 v1, v8, v1
	v_add_f32_e32 v8, -1.0, v3
	v_add_f32_e32 v15, 1.0, v3
	v_add_f32_e32 v9, 1.0, v8
	v_add_f32_e32 v37, -1.0, v15
	v_sub_f32_e32 v9, v3, v9
	v_sub_f32_e32 v3, v3, v37
	v_add_f32_e32 v9, v1, v9
	v_add_f32_e32 v1, v1, v3
	;; [unrolled: 1-line block ×3, first 2 shown]
	v_rcp_f32_e32 v37, v3
	v_add_f32_e32 v14, v8, v9
	v_sub_f32_e32 v8, v14, v8
	v_sub_f32_e32 v8, v9, v8
	;; [unrolled: 1-line block ×4, first 2 shown]
	v_mul_f32_e32 v9, v14, v37
	v_mul_f32_e32 v15, v3, v9
	v_fma_f32 v38, v9, v3, -v15
	v_fmac_f32_e32 v38, v9, v1
	v_add_f32_e32 v39, v15, v38
	v_mov_b32_e32 v5, v40
	v_sub_f32_e32 v40, v14, v39
	v_sub_f32_e32 v14, v14, v40
	;; [unrolled: 1-line block ×4, first 2 shown]
	v_add_f32_e32 v8, v8, v14
	v_sub_f32_e32 v14, v15, v38
	v_add_f32_e32 v8, v14, v8
	v_add_f32_e32 v14, v40, v8
	v_mul_f32_e32 v15, v37, v14
	v_mul_f32_e32 v38, v3, v15
	v_fma_f32 v3, v15, v3, -v38
	v_fmac_f32_e32 v3, v15, v1
	v_sub_f32_e32 v1, v40, v14
	v_add_f32_e32 v1, v8, v1
	v_add_f32_e32 v8, v38, v3
	v_sub_f32_e32 v39, v14, v8
	v_sub_f32_e32 v14, v14, v39
	;; [unrolled: 1-line block ×4, first 2 shown]
	v_add_f32_e32 v1, v1, v8
	v_sub_f32_e32 v3, v38, v3
	v_add_f32_e32 v1, v3, v1
	v_add_f32_e32 v3, v9, v15
	;; [unrolled: 1-line block ×3, first 2 shown]
	v_sub_f32_e32 v8, v3, v9
	v_mul_f32_e32 v1, v37, v1
	v_sub_f32_e32 v8, v15, v8
	v_add_f32_e32 v1, v8, v1
	v_cvt_f32_i32_e32 v0, v0
	v_add_f32_e32 v8, v3, v1
	v_mul_f32_e32 v9, v8, v8
	v_mov_b32_e32 v14, 0x3ecc95a3
	v_fmac_f32_e32 v14, 0x3e9b6dac, v9
	v_mov_b32_e32 v15, 0x3f2aaada
	v_fmac_f32_e32 v15, v9, v14
	s_mov_b32 s2, 0x3f317218
	v_mul_f32_e32 v14, 0x3f317218, v0
	v_fma_f32 v37, v0, s2, -v14
	v_fmac_f32_e32 v37, 0xb102e308, v0
	v_sub_f32_e32 v0, v8, v3
	v_sub_f32_e32 v0, v1, v0
	v_add_f32_e32 v1, v14, v37
	v_sub_f32_e32 v3, v1, v14
	v_ldexp_f32 v14, v8, 1
	v_mul_f32_e32 v8, v8, v9
	v_mul_f32_e32 v8, v8, v15
	v_add_f32_e32 v9, v14, v8
	v_sub_f32_e32 v14, v9, v14
	v_ldexp_f32 v0, v0, 1
	v_sub_f32_e32 v8, v8, v14
	v_add_f32_e32 v0, v0, v8
	v_add_f32_e32 v8, v9, v0
	v_sub_f32_e32 v9, v8, v9
	v_sub_f32_e32 v0, v0, v9
	v_add_f32_e32 v9, v1, v8
	v_sub_f32_e32 v14, v9, v1
	v_sub_f32_e32 v15, v9, v14
	;; [unrolled: 1-line block ×5, first 2 shown]
	v_add_f32_e32 v1, v8, v1
	v_add_f32_e32 v8, v3, v0
	v_sub_f32_e32 v14, v8, v3
	v_sub_f32_e32 v15, v8, v14
	;; [unrolled: 1-line block ×4, first 2 shown]
	v_add_f32_e32 v1, v8, v1
	v_add_f32_e32 v0, v0, v3
	;; [unrolled: 1-line block ×3, first 2 shown]
	s_load_dwordx8 s[8:15], s[4:5], 0x30
	v_sub_f32_e32 v8, v3, v9
	v_sub_f32_e32 v1, v1, v8
	v_add_f32_e32 v0, v0, v1
	s_mov_b32 s2, 0xff800000
	v_add_f32_e32 v0, v3, v0
	v_cmp_eq_f32_e32 vcc, s2, v2
	s_add_u32 s34, s4, 48
	v_cndmask_b32_e64 v0, v0, -v2, vcc
	v_mov_b32_e32 v1, 0x7fc00000
	v_cmp_nlt_f32_e32 vcc, 1.0, v2
	s_addc_u32 s35, s5, 0
	s_waitcnt lgkmcnt(0)
	s_add_i32 s0, s8, -1
	v_cndmask_b32_e32 v0, v1, v0, vcc
	v_mov_b32_e32 v1, 0xff800000
	v_cmp_neq_f32_e32 vcc, 1.0, v2
	s_cmp_gt_u32 s0, 1
	v_cndmask_b32_e32 v0, v1, v0, vcc
	v_log_f32_e32 v1, s0
	s_cselect_b64 s[40:41], -1, 0
	s_cmp_lg_u32 s8, 0
	s_cselect_b64 s[42:43], -1, 0
	s_add_u32 s44, s4, 0xf4
	s_mov_b32 s2, 0x33800000
	s_addc_u32 s45, s5, 0
	s_min_u32 s1, s0, 15
	v_cmp_lt_f32_e64 s[2:3], |v2|, s2
	s_cmp_gt_u32 s8, 1
	v_cndmask_b32_e64 v37, v0, -v2, s[2:3]
	s_mov_b32 s8, 0x3f317217
	v_mul_f32_e32 v0, 0x3f317217, v1
	v_fma_f32 v2, v1, s8, -v0
	v_fmac_f32_e32 v2, 0x3377d1cf, v1
	s_mov_b32 s15, 0x7f800000
	v_add_f32_e32 v0, v0, v2
	v_cmp_lt_f32_e64 vcc, |v1|, s15
	v_cndmask_b32_e32 v0, v1, v0, vcc
	v_div_scale_f32 v1, s[2:3], v37, v37, v0
	v_rcp_f32_e32 v2, v1
	s_cselect_b64 s[48:49], -1, 0
	s_add_i32 s1, s1, 1
	s_lshl_b32 s62, s33, 1
	v_fma_f32 v3, -v1, v2, 1.0
	v_fmac_f32_e32 v2, v3, v2
	v_div_scale_f32 v3, vcc, v0, v37, v0
	v_mul_f32_e32 v8, v3, v2
	v_fma_f32 v9, -v1, v8, v3
	v_fmac_f32_e32 v8, v9, v2
	v_fma_f32 v1, -v1, v8, v3
	v_div_fmas_f32 v1, v1, v2, v8
	v_div_fixup_f32 v0, v1, v37, v0
	v_ceil_f32_e32 v0, v0
	s_and_b32 s66, s1, 3
	v_cvt_f16_f32_e32 v38, v0
	s_cmp_lg_u32 s0, 2
	s_cselect_b64 s[30:31], -1, 0
	s_and_b32 s67, s1, 28
	s_mov_b32 s59, 0
	s_cmp_lg_u32 s66, 0
	s_mov_b32 s63, s59
	s_mul_i32 s64, s33, 3
	s_mov_b32 s65, s59
	s_mov_b64 s[50:51], 0
	s_cselect_b64 s[52:53], -1, 0
	s_mov_b32 s68, 0x800000
	v_mov_b32_e32 v39, 0x4f800000
	v_mov_b32_e32 v40, 0x41b17218
	;; [unrolled: 1-line block ×4, first 2 shown]
	s_branch .LBB29_9
.LBB29_7:                               ;   in Loop: Header=BB29_9 Depth=1
	global_store_short v6, v38, s[28:29]
.LBB29_8:                               ;   in Loop: Header=BB29_9 Depth=1
	s_or_b64 exec, exec, s[36:37]
	v_add_co_u32_e32 v12, vcc, s58, v12
	v_mov_b32_e32 v3, v14
	v_addc_co_u32_e32 v13, vcc, 0, v13, vcc
	v_cmp_le_i64_e32 vcc, s[26:27], v[12:13]
	v_pk_mov_b32 v[6:7], v[2:3], v[2:3] op_sel:[0,1]
	s_or_b64 s[50:51], vcc, s[50:51]
	v_pk_mov_b32 v[4:5], v[0:1], v[0:1] op_sel:[0,1]
	s_barrier
	s_andn2_b64 exec, exec, s[50:51]
	s_cbranch_execz .LBB29_82
.LBB29_9:                               ; =>This Loop Header: Depth=1
                                        ;     Child Loop BB29_24 Depth 2
                                        ;     Child Loop BB29_30 Depth 2
	;; [unrolled: 1-line block ×8, first 2 shown]
	v_add_co_u32_e32 v27, vcc, 1, v27
	v_cndmask_b32_e64 v0, 0, 1, vcc
	v_addc_co_u32_e32 v28, vcc, 0, v28, vcc
	v_cmp_eq_u32_e32 vcc, 0, v28
	v_cndmask_b32_e32 v0, 0, v0, vcc
	v_add_u32_e32 v41, v0, v41
	v_cmp_eq_u32_e32 vcc, 0, v41
	v_cndmask_b32_e32 v0, 0, v0, vcc
	v_add_u32_e32 v42, v0, v42
	v_mad_u64_u32 v[0:1], s[0:1], v27, s60, 0
	v_mad_u64_u32 v[2:3], s[0:1], v41, s61, 0
	v_xor_b32_e32 v1, v1, v11
	v_xor_b32_e32 v3, v3, v10
	v_xor_b32_e32 v1, v42, v1
	v_xor_b32_e32 v3, v28, v3
	v_mad_u64_u32 v[14:15], s[0:1], v1, s61, 0
	v_mad_u64_u32 v[8:9], s[0:1], v3, s60, 0
	v_xor_b32_e32 v1, v26, v15
	v_xor_b32_e32 v1, v1, v2
	v_xor_b32_e32 v2, v29, v9
	v_xor_b32_e32 v2, v2, v0
	;; [unrolled: 6-line block ×10, first 2 shown]
	v_mov_b32_e32 v1, v8
	v_mov_b32_e32 v2, v9
	v_cmp_lt_i32_e32 vcc, 1, v16
	s_and_saveexec_b64 s[0:1], vcc
	s_xor_b64 s[0:1], exec, s[0:1]
	s_cbranch_execz .LBB29_15
; %bb.10:                               ;   in Loop: Header=BB29_9 Depth=1
	v_cmp_lt_i32_e32 vcc, 2, v16
	s_and_saveexec_b64 s[2:3], vcc
	s_xor_b64 s[2:3], exec, s[2:3]
; %bb.11:                               ;   in Loop: Header=BB29_9 Depth=1
	v_mov_b32_e32 v6, v7
	v_mov_b32_e32 v7, v0
	v_pk_mov_b32 v[4:5], v[6:7], v[6:7] op_sel:[0,1]
	v_pk_mov_b32 v[6:7], v[8:9], v[8:9] op_sel:[0,1]
                                        ; implicit-def: $vgpr8_vgpr9
; %bb.12:                               ;   in Loop: Header=BB29_9 Depth=1
	s_andn2_saveexec_b64 s[2:3], s[2:3]
; %bb.13:                               ;   in Loop: Header=BB29_9 Depth=1
	v_mov_b32_e32 v4, v6
	v_mov_b32_e32 v5, v7
	;; [unrolled: 1-line block ×4, first 2 shown]
; %bb.14:                               ;   in Loop: Header=BB29_9 Depth=1
	s_or_b64 exec, exec, s[2:3]
.LBB29_15:                              ;   in Loop: Header=BB29_9 Depth=1
	s_andn2_saveexec_b64 s[0:1], s[0:1]
	s_cbranch_execz .LBB29_19
; %bb.16:                               ;   in Loop: Header=BB29_9 Depth=1
	v_cmp_eq_u32_e32 vcc, 1, v16
	s_and_saveexec_b64 s[2:3], vcc
; %bb.17:                               ;   in Loop: Header=BB29_9 Depth=1
	v_mov_b32_e32 v4, v5
	v_mov_b32_e32 v5, v6
	;; [unrolled: 1-line block ×4, first 2 shown]
; %bb.18:                               ;   in Loop: Header=BB29_9 Depth=1
	s_or_b64 exec, exec, s[2:3]
.LBB29_19:                              ;   in Loop: Header=BB29_9 Depth=1
	s_or_b64 exec, exec, s[0:1]
	v_cndmask_b32_e64 v3, 0, 1, s[40:41]
	v_cmp_gt_i64_e32 vcc, s[24:25], v[12:13]
	v_cmp_ne_u32_e64 s[0:1], 1, v3
	s_and_saveexec_b64 s[54:55], vcc
	s_cbranch_execz .LBB29_35
; %bb.20:                               ;   in Loop: Header=BB29_9 Depth=1
	s_and_b64 vcc, exec, s[0:1]
	s_cbranch_vccnz .LBB29_26
; %bb.21:                               ;   in Loop: Header=BB29_9 Depth=1
	s_andn2_b64 vcc, exec, s[42:43]
	s_cbranch_vccnz .LBB29_27
; %bb.22:                               ;   in Loop: Header=BB29_9 Depth=1
	s_mov_b32 s4, 0
	s_andn2_b64 vcc, exec, s[30:31]
	v_mov_b32_e32 v8, 0
	s_cbranch_vccnz .LBB29_28
; %bb.23:                               ;   in Loop: Header=BB29_9 Depth=1
	s_mov_b32 s69, 0
	v_mov_b32_e32 v8, 0
	s_mov_b64 s[2:3], s[34:35]
	s_mov_b64 s[56:57], s[44:45]
	v_mov_b32_e32 v3, v12
.LBB29_24:                              ;   Parent Loop BB29_9 Depth=1
                                        ; =>  This Inner Loop Header: Depth=2
	s_load_dwordx8 s[16:23], s[2:3], 0x4
	s_load_dwordx4 s[4:7], s[2:3], 0x24
	s_load_dwordx4 s[36:39], s[56:57], 0x0
	s_add_u32 s2, s2, 48
	s_addc_u32 s3, s3, 0
	s_waitcnt lgkmcnt(0)
	v_mul_hi_u32 v9, s17, v3
	v_add_u32_e32 v9, v3, v9
	v_lshrrev_b32_e32 v9, s18, v9
	v_mul_lo_u32 v15, v9, s16
	v_mul_hi_u32 v43, s20, v9
	v_sub_u32_e32 v3, v3, v15
	v_add_u32_e32 v15, v9, v43
	v_lshrrev_b32_e32 v15, s21, v15
	v_mul_lo_u32 v43, v15, s19
	v_mul_hi_u32 v44, s23, v15
	v_sub_u32_e32 v9, v9, v43
	v_add_u32_e32 v43, v15, v44
	v_mul_lo_u32 v3, v3, s36
	v_mul_lo_u32 v9, v9, s37
	v_lshrrev_b32_e32 v43, s4, v43
	v_add3_u32 v8, v3, v8, v9
	v_mul_lo_u32 v3, v43, s22
	v_mul_hi_u32 v9, s6, v43
	v_sub_u32_e32 v3, v15, v3
	v_add_u32_e32 v9, v43, v9
	v_mul_lo_u32 v15, v3, s38
	v_lshrrev_b32_e32 v3, s7, v9
	s_add_i32 s69, s69, 4
	v_mul_lo_u32 v9, v3, s5
	s_add_u32 s56, s56, 16
	v_sub_u32_e32 v9, v43, v9
	s_addc_u32 s57, s57, 0
	v_mul_lo_u32 v9, v9, s39
	s_cmp_lg_u32 s67, s69
	v_add3_u32 v8, v15, v8, v9
	s_cbranch_scc1 .LBB29_24
; %bb.25:                               ;   in Loop: Header=BB29_9 Depth=1
	s_mov_b32 s4, s67
	s_andn2_b64 vcc, exec, s[52:53]
	s_cbranch_vccz .LBB29_29
	s_branch .LBB29_31
.LBB29_26:                              ;   in Loop: Header=BB29_9 Depth=1
                                        ; implicit-def: $vgpr8
	s_branch .LBB29_32
.LBB29_27:                              ;   in Loop: Header=BB29_9 Depth=1
	v_mov_b32_e32 v8, 0
	s_branch .LBB29_31
.LBB29_28:                              ;   in Loop: Header=BB29_9 Depth=1
	v_mov_b32_e32 v3, v12
	s_andn2_b64 vcc, exec, s[52:53]
	s_cbranch_vccnz .LBB29_31
.LBB29_29:                              ;   in Loop: Header=BB29_9 Depth=1
	s_lshl_b32 s2, s4, 2
	s_add_u32 s2, s44, s2
	s_addc_u32 s3, s45, 0
	s_mul_i32 s4, s4, 12
	s_add_u32 s4, s34, s4
	s_addc_u32 s5, s35, 0
	s_mov_b32 s6, s66
.LBB29_30:                              ;   Parent Loop BB29_9 Depth=1
                                        ; =>  This Inner Loop Header: Depth=2
	s_load_dwordx2 s[16:17], s[4:5], 0x4
	s_load_dword s7, s[4:5], 0xc
	s_load_dword s18, s[2:3], 0x0
	s_add_u32 s4, s4, 12
	s_addc_u32 s5, s5, 0
	s_waitcnt lgkmcnt(0)
	v_mul_hi_u32 v9, s17, v3
	v_add_u32_e32 v9, v3, v9
	v_lshrrev_b32_e32 v9, s7, v9
	s_add_u32 s2, s2, 4
	v_mul_lo_u32 v15, v9, s16
	s_addc_u32 s3, s3, 0
	s_add_i32 s6, s6, -1
	v_sub_u32_e32 v15, v3, v15
	s_cmp_lg_u32 s6, 0
	v_mov_b32_e32 v3, v9
	v_mad_u64_u32 v[8:9], s[16:17], v15, s18, v[8:9]
	s_cbranch_scc1 .LBB29_30
.LBB29_31:                              ;   in Loop: Header=BB29_9 Depth=1
	s_cbranch_execnz .LBB29_34
.LBB29_32:                              ;   in Loop: Header=BB29_9 Depth=1
	v_mul_hi_u32 v3, v12, s10
	v_add_u32_e32 v3, v3, v12
	v_lshrrev_b32_e32 v3, s11, v3
	v_mul_lo_u32 v8, v3, s9
	v_sub_u32_e32 v8, v12, v8
	s_andn2_b64 vcc, exec, s[48:49]
	v_mul_lo_u32 v8, v8, s46
	s_cbranch_vccnz .LBB29_34
; %bb.33:                               ;   in Loop: Header=BB29_9 Depth=1
	v_mul_hi_u32 v9, s13, v3
	v_add_u32_e32 v9, v3, v9
	v_lshrrev_b32_e32 v9, s14, v9
	v_mul_lo_u32 v9, v9, s12
	v_sub_u32_e32 v3, v3, v9
	v_mad_u64_u32 v[8:9], s[2:3], v3, s47, v[8:9]
.LBB29_34:                              ;   in Loop: Header=BB29_9 Depth=1
	v_lshrrev_b32_e32 v3, 11, v5
	v_cvt_f64_u32_e32 v[44:45], v3
	v_ldexp_f64 v[44:45], v[44:45], 32
	v_cvt_f64_u32_e32 v[4:5], v4
	v_add_f64 v[4:5], v[44:45], v[4:5]
	v_mov_b32_e32 v44, 0
	v_mov_b32_e32 v45, 0x3ca00000
	v_fmac_f64_e32 v[44:45], 0x3ca00000, v[4:5]
	v_cvt_f32_f64_e32 v3, v[44:45]
	v_cmp_gt_f32_e32 vcc, s68, v3
	v_cndmask_b32_e32 v4, 1.0, v39, vcc
	v_mul_f32_e32 v3, v3, v4
	v_log_f32_e32 v3, v3
	v_mul_f32_e32 v4, 0x3f317217, v3
	v_fma_f32 v5, v3, s8, -v4
	v_fmac_f32_e32 v5, 0x3377d1cf, v3
	v_add_f32_e32 v4, v4, v5
	v_cmp_lt_f32_e64 s[2:3], |v3|, s15
	v_cndmask_b32_e64 v3, v3, v4, s[2:3]
	v_cndmask_b32_e32 v4, 0, v40, vcc
	v_sub_f32_e32 v3, v3, v4
	v_div_scale_f32 v4, s[2:3], v37, v37, v3
	v_rcp_f32_e32 v5, v4
	v_fma_f32 v9, -v4, v5, 1.0
	v_fmac_f32_e32 v5, v9, v5
	v_div_scale_f32 v9, vcc, v3, v37, v3
	v_mul_f32_e32 v15, v9, v5
	v_fma_f32 v43, -v4, v15, v9
	v_fmac_f32_e32 v15, v43, v5
	v_fma_f32 v4, -v4, v15, v9
	v_div_fmas_f32 v4, v4, v5, v15
	v_div_fixup_f32 v3, v4, v37, v3
	v_ceil_f32_e32 v3, v3
	v_cvt_f16_f32_e32 v3, v3
	global_store_short v8, v3, s[28:29]
.LBB29_35:                              ;   in Loop: Header=BB29_9 Depth=1
	s_or_b64 exec, exec, s[54:55]
	v_mov_b32_e32 v3, s59
	v_add_co_u32_e32 v8, vcc, s33, v12
	v_addc_co_u32_e32 v9, vcc, v13, v3, vcc
	v_cmp_gt_i64_e32 vcc, s[24:25], v[8:9]
	s_and_saveexec_b64 s[54:55], vcc
	s_cbranch_execz .LBB29_51
; %bb.36:                               ;   in Loop: Header=BB29_9 Depth=1
	s_and_b64 vcc, exec, s[0:1]
	s_cbranch_vccnz .LBB29_42
; %bb.37:                               ;   in Loop: Header=BB29_9 Depth=1
	s_andn2_b64 vcc, exec, s[42:43]
	s_cbranch_vccnz .LBB29_43
; %bb.38:                               ;   in Loop: Header=BB29_9 Depth=1
	s_mov_b32 s4, 0
	s_andn2_b64 vcc, exec, s[30:31]
	v_mov_b32_e32 v4, 0
	s_cbranch_vccnz .LBB29_44
; %bb.39:                               ;   in Loop: Header=BB29_9 Depth=1
	s_mov_b32 s69, 0
	v_mov_b32_e32 v4, 0
	s_mov_b64 s[2:3], s[34:35]
	s_mov_b64 s[56:57], s[44:45]
	v_mov_b32_e32 v3, v8
.LBB29_40:                              ;   Parent Loop BB29_9 Depth=1
                                        ; =>  This Inner Loop Header: Depth=2
	s_load_dwordx8 s[16:23], s[2:3], 0x4
	s_load_dwordx4 s[4:7], s[2:3], 0x24
	s_load_dwordx4 s[36:39], s[56:57], 0x0
	s_add_u32 s2, s2, 48
	s_addc_u32 s3, s3, 0
	s_waitcnt lgkmcnt(0)
	v_mul_hi_u32 v5, s17, v3
	v_add_u32_e32 v5, v3, v5
	v_lshrrev_b32_e32 v5, s18, v5
	v_mul_lo_u32 v9, v5, s16
	v_mul_hi_u32 v15, s20, v5
	v_sub_u32_e32 v3, v3, v9
	v_add_u32_e32 v9, v5, v15
	v_lshrrev_b32_e32 v9, s21, v9
	v_mul_lo_u32 v15, v9, s19
	v_mul_hi_u32 v43, s23, v9
	v_sub_u32_e32 v5, v5, v15
	v_add_u32_e32 v15, v9, v43
	v_mul_lo_u32 v3, v3, s36
	v_mul_lo_u32 v5, v5, s37
	v_lshrrev_b32_e32 v15, s4, v15
	v_add3_u32 v4, v3, v4, v5
	v_mul_lo_u32 v3, v15, s22
	v_mul_hi_u32 v5, s6, v15
	v_sub_u32_e32 v3, v9, v3
	v_add_u32_e32 v5, v15, v5
	v_mul_lo_u32 v9, v3, s38
	v_lshrrev_b32_e32 v3, s7, v5
	s_add_i32 s69, s69, 4
	v_mul_lo_u32 v5, v3, s5
	s_add_u32 s56, s56, 16
	v_sub_u32_e32 v5, v15, v5
	s_addc_u32 s57, s57, 0
	v_mul_lo_u32 v5, v5, s39
	s_cmp_eq_u32 s67, s69
	v_add3_u32 v4, v9, v4, v5
	s_cbranch_scc0 .LBB29_40
; %bb.41:                               ;   in Loop: Header=BB29_9 Depth=1
	s_mov_b32 s4, s67
	s_andn2_b64 vcc, exec, s[52:53]
	s_cbranch_vccz .LBB29_45
	s_branch .LBB29_47
.LBB29_42:                              ;   in Loop: Header=BB29_9 Depth=1
                                        ; implicit-def: $vgpr4
	s_branch .LBB29_48
.LBB29_43:                              ;   in Loop: Header=BB29_9 Depth=1
	v_mov_b32_e32 v4, 0
	s_branch .LBB29_47
.LBB29_44:                              ;   in Loop: Header=BB29_9 Depth=1
	v_mov_b32_e32 v3, v8
	s_andn2_b64 vcc, exec, s[52:53]
	s_cbranch_vccnz .LBB29_47
.LBB29_45:                              ;   in Loop: Header=BB29_9 Depth=1
	s_lshl_b32 s2, s4, 2
	s_add_u32 s2, s44, s2
	s_addc_u32 s3, s45, 0
	s_mul_i32 s4, s4, 12
	s_add_u32 s4, s34, s4
	s_addc_u32 s5, s35, 0
	s_mov_b32 s6, s66
.LBB29_46:                              ;   Parent Loop BB29_9 Depth=1
                                        ; =>  This Inner Loop Header: Depth=2
	s_load_dwordx2 s[16:17], s[4:5], 0x4
	s_load_dword s7, s[4:5], 0xc
	s_load_dword s18, s[2:3], 0x0
	s_add_u32 s4, s4, 12
	s_addc_u32 s5, s5, 0
	s_waitcnt lgkmcnt(0)
	v_mul_hi_u32 v5, s17, v3
	v_add_u32_e32 v5, v3, v5
	v_lshrrev_b32_e32 v5, s7, v5
	s_add_u32 s2, s2, 4
	v_mul_lo_u32 v9, v5, s16
	s_addc_u32 s3, s3, 0
	s_add_i32 s6, s6, -1
	v_sub_u32_e32 v9, v3, v9
	s_cmp_lg_u32 s6, 0
	v_mov_b32_e32 v3, v5
	v_mad_u64_u32 v[4:5], s[16:17], v9, s18, v[4:5]
	s_cbranch_scc1 .LBB29_46
.LBB29_47:                              ;   in Loop: Header=BB29_9 Depth=1
	s_cbranch_execnz .LBB29_50
.LBB29_48:                              ;   in Loop: Header=BB29_9 Depth=1
	v_mul_hi_u32 v3, v8, s10
	v_add_u32_e32 v3, v3, v8
	v_lshrrev_b32_e32 v3, s11, v3
	v_mul_lo_u32 v4, v3, s9
	v_sub_u32_e32 v4, v8, v4
	s_andn2_b64 vcc, exec, s[48:49]
	v_mul_lo_u32 v4, v4, s46
	s_cbranch_vccnz .LBB29_50
; %bb.49:                               ;   in Loop: Header=BB29_9 Depth=1
	v_mul_hi_u32 v5, s13, v3
	v_add_u32_e32 v5, v3, v5
	v_lshrrev_b32_e32 v5, s14, v5
	v_mul_lo_u32 v5, v5, s12
	v_sub_u32_e32 v3, v3, v5
	v_mad_u64_u32 v[4:5], s[2:3], v3, s47, v[4:5]
.LBB29_50:                              ;   in Loop: Header=BB29_9 Depth=1
	v_lshrrev_b32_e32 v3, 11, v7
	v_cvt_f64_u32_e32 v[8:9], v3
	v_ldexp_f64 v[8:9], v[8:9], 32
	v_cvt_f64_u32_e32 v[6:7], v6
	v_add_f64 v[6:7], v[8:9], v[6:7]
	v_mov_b32_e32 v8, 0
	v_mov_b32_e32 v9, 0x3ca00000
	v_fmac_f64_e32 v[8:9], 0x3ca00000, v[6:7]
	v_cvt_f32_f64_e32 v3, v[8:9]
	v_cmp_gt_f32_e32 vcc, s68, v3
	v_cndmask_b32_e32 v5, 1.0, v39, vcc
	v_mul_f32_e32 v3, v3, v5
	v_log_f32_e32 v3, v3
	v_mul_f32_e32 v5, 0x3f317217, v3
	v_fma_f32 v6, v3, s8, -v5
	v_fmac_f32_e32 v6, 0x3377d1cf, v3
	v_add_f32_e32 v5, v5, v6
	v_cmp_lt_f32_e64 s[2:3], |v3|, s15
	v_cndmask_b32_e64 v3, v3, v5, s[2:3]
	v_cndmask_b32_e32 v5, 0, v40, vcc
	v_sub_f32_e32 v3, v3, v5
	v_div_scale_f32 v5, s[2:3], v37, v37, v3
	v_rcp_f32_e32 v6, v5
	v_fma_f32 v7, -v5, v6, 1.0
	v_fmac_f32_e32 v6, v7, v6
	v_div_scale_f32 v7, vcc, v3, v37, v3
	v_mul_f32_e32 v8, v7, v6
	v_fma_f32 v9, -v5, v8, v7
	v_fmac_f32_e32 v8, v9, v6
	v_fma_f32 v5, -v5, v8, v7
	v_div_fmas_f32 v5, v5, v6, v8
	v_div_fixup_f32 v3, v5, v37, v3
	v_ceil_f32_e32 v3, v3
	v_cvt_f16_f32_e32 v3, v3
	global_store_short v4, v3, s[28:29]
.LBB29_51:                              ;   in Loop: Header=BB29_9 Depth=1
	s_or_b64 exec, exec, s[54:55]
	v_mov_b32_e32 v3, s63
	v_add_co_u32_e32 v4, vcc, s62, v12
	v_addc_co_u32_e32 v5, vcc, v13, v3, vcc
	v_cmp_gt_i64_e32 vcc, s[24:25], v[4:5]
	s_and_saveexec_b64 s[2:3], vcc
	s_cbranch_execz .LBB29_67
; %bb.52:                               ;   in Loop: Header=BB29_9 Depth=1
	s_and_b64 vcc, exec, s[0:1]
	s_cbranch_vccnz .LBB29_58
; %bb.53:                               ;   in Loop: Header=BB29_9 Depth=1
	s_andn2_b64 vcc, exec, s[42:43]
	s_cbranch_vccnz .LBB29_59
; %bb.54:                               ;   in Loop: Header=BB29_9 Depth=1
	s_mov_b32 s6, 0
	s_andn2_b64 vcc, exec, s[30:31]
	v_mov_b32_e32 v6, 0
	s_cbranch_vccnz .LBB29_60
; %bb.55:                               ;   in Loop: Header=BB29_9 Depth=1
	s_mov_b32 s69, 0
	v_mov_b32_e32 v6, 0
	s_mov_b64 s[54:55], s[34:35]
	s_mov_b64 s[56:57], s[44:45]
	v_mov_b32_e32 v3, v4
.LBB29_56:                              ;   Parent Loop BB29_9 Depth=1
                                        ; =>  This Inner Loop Header: Depth=2
	s_load_dwordx8 s[16:23], s[54:55], 0x4
	s_load_dwordx4 s[4:7], s[54:55], 0x24
	s_load_dwordx4 s[36:39], s[56:57], 0x0
	s_add_u32 s54, s54, 48
	s_addc_u32 s55, s55, 0
	s_waitcnt lgkmcnt(0)
	v_mul_hi_u32 v5, s17, v3
	v_add_u32_e32 v5, v3, v5
	v_lshrrev_b32_e32 v5, s18, v5
	v_mul_lo_u32 v7, v5, s16
	v_mul_hi_u32 v8, s20, v5
	v_sub_u32_e32 v3, v3, v7
	v_add_u32_e32 v7, v5, v8
	v_lshrrev_b32_e32 v7, s21, v7
	v_mul_lo_u32 v8, v7, s19
	v_mul_hi_u32 v9, s23, v7
	v_sub_u32_e32 v5, v5, v8
	v_add_u32_e32 v8, v7, v9
	v_mul_lo_u32 v3, v3, s36
	v_mul_lo_u32 v5, v5, s37
	v_lshrrev_b32_e32 v8, s4, v8
	v_add3_u32 v5, v3, v6, v5
	v_mul_lo_u32 v3, v8, s22
	v_mul_hi_u32 v6, s6, v8
	v_sub_u32_e32 v3, v7, v3
	v_add_u32_e32 v6, v8, v6
	v_mul_lo_u32 v7, v3, s38
	v_lshrrev_b32_e32 v3, s7, v6
	s_add_i32 s69, s69, 4
	v_mul_lo_u32 v6, v3, s5
	s_add_u32 s56, s56, 16
	v_sub_u32_e32 v6, v8, v6
	s_addc_u32 s57, s57, 0
	v_mul_lo_u32 v6, v6, s39
	s_cmp_eq_u32 s67, s69
	v_add3_u32 v6, v7, v5, v6
	s_cbranch_scc0 .LBB29_56
; %bb.57:                               ;   in Loop: Header=BB29_9 Depth=1
	s_mov_b32 s6, s67
	s_andn2_b64 vcc, exec, s[52:53]
	s_cbranch_vccz .LBB29_61
	s_branch .LBB29_63
.LBB29_58:                              ;   in Loop: Header=BB29_9 Depth=1
                                        ; implicit-def: $vgpr6
	s_branch .LBB29_64
.LBB29_59:                              ;   in Loop: Header=BB29_9 Depth=1
	v_mov_b32_e32 v6, 0
	s_branch .LBB29_63
.LBB29_60:                              ;   in Loop: Header=BB29_9 Depth=1
	v_mov_b32_e32 v3, v4
	s_andn2_b64 vcc, exec, s[52:53]
	s_cbranch_vccnz .LBB29_63
.LBB29_61:                              ;   in Loop: Header=BB29_9 Depth=1
	s_lshl_b32 s4, s6, 2
	s_add_u32 s4, s44, s4
	s_addc_u32 s5, s45, 0
	s_mul_i32 s6, s6, 12
	s_add_u32 s6, s34, s6
	s_addc_u32 s7, s35, 0
	s_mov_b32 s16, s66
.LBB29_62:                              ;   Parent Loop BB29_9 Depth=1
                                        ; =>  This Inner Loop Header: Depth=2
	s_load_dwordx2 s[18:19], s[6:7], 0x4
	s_load_dword s17, s[6:7], 0xc
	s_load_dword s20, s[4:5], 0x0
	s_add_u32 s6, s6, 12
	s_addc_u32 s7, s7, 0
	s_waitcnt lgkmcnt(0)
	v_mul_hi_u32 v5, s19, v3
	v_add_u32_e32 v5, v3, v5
	v_lshrrev_b32_e32 v5, s17, v5
	s_add_u32 s4, s4, 4
	v_mul_lo_u32 v7, v5, s18
	s_addc_u32 s5, s5, 0
	s_add_i32 s16, s16, -1
	v_sub_u32_e32 v7, v3, v7
	s_cmp_lg_u32 s16, 0
	v_mov_b32_e32 v3, v5
	v_mad_u64_u32 v[6:7], s[18:19], v7, s20, v[6:7]
	s_cbranch_scc1 .LBB29_62
.LBB29_63:                              ;   in Loop: Header=BB29_9 Depth=1
	s_cbranch_execnz .LBB29_66
.LBB29_64:                              ;   in Loop: Header=BB29_9 Depth=1
	v_mul_hi_u32 v3, v4, s10
	v_add_u32_e32 v3, v3, v4
	v_lshrrev_b32_e32 v3, s11, v3
	v_mul_lo_u32 v5, v3, s9
	v_sub_u32_e32 v4, v4, v5
	s_andn2_b64 vcc, exec, s[48:49]
	v_mul_lo_u32 v6, v4, s46
	s_cbranch_vccnz .LBB29_66
; %bb.65:                               ;   in Loop: Header=BB29_9 Depth=1
	v_mul_hi_u32 v4, s13, v3
	v_add_u32_e32 v4, v3, v4
	v_lshrrev_b32_e32 v4, s14, v4
	v_mul_lo_u32 v4, v4, s12
	v_sub_u32_e32 v3, v3, v4
	v_mad_u64_u32 v[6:7], s[4:5], v3, s47, v[6:7]
.LBB29_66:                              ;   in Loop: Header=BB29_9 Depth=1
	global_store_short v6, v38, s[28:29]
.LBB29_67:                              ;   in Loop: Header=BB29_9 Depth=1
	s_or_b64 exec, exec, s[2:3]
	v_mov_b32_e32 v3, s65
	v_add_co_u32_e32 v4, vcc, s64, v12
	v_addc_co_u32_e32 v5, vcc, v13, v3, vcc
	v_cmp_gt_i64_e32 vcc, s[24:25], v[4:5]
	s_and_saveexec_b64 s[36:37], vcc
	s_cbranch_execz .LBB29_8
; %bb.68:                               ;   in Loop: Header=BB29_9 Depth=1
	s_and_b64 vcc, exec, s[0:1]
	s_cbranch_vccnz .LBB29_74
; %bb.69:                               ;   in Loop: Header=BB29_9 Depth=1
	s_andn2_b64 vcc, exec, s[42:43]
	s_cbranch_vccnz .LBB29_75
; %bb.70:                               ;   in Loop: Header=BB29_9 Depth=1
	s_mov_b32 s2, 0
	s_andn2_b64 vcc, exec, s[30:31]
	v_mov_b32_e32 v6, 0
	s_cbranch_vccnz .LBB29_76
; %bb.71:                               ;   in Loop: Header=BB29_9 Depth=1
	s_mov_b32 s56, 0
	v_mov_b32_e32 v6, 0
	s_mov_b64 s[38:39], s[34:35]
	s_mov_b64 s[54:55], s[44:45]
	v_mov_b32_e32 v3, v4
.LBB29_72:                              ;   Parent Loop BB29_9 Depth=1
                                        ; =>  This Inner Loop Header: Depth=2
	s_load_dwordx8 s[0:7], s[38:39], 0x4
	s_load_dwordx4 s[16:19], s[38:39], 0x24
	s_load_dwordx4 s[20:23], s[54:55], 0x0
	s_add_u32 s38, s38, 48
	s_addc_u32 s39, s39, 0
	s_waitcnt lgkmcnt(0)
	v_mul_hi_u32 v5, s1, v3
	v_add_u32_e32 v5, v3, v5
	v_lshrrev_b32_e32 v5, s2, v5
	v_mul_lo_u32 v7, v5, s0
	v_mul_hi_u32 v8, s4, v5
	v_sub_u32_e32 v3, v3, v7
	v_add_u32_e32 v7, v5, v8
	v_lshrrev_b32_e32 v7, s5, v7
	v_mul_lo_u32 v8, v7, s3
	v_mul_hi_u32 v9, s7, v7
	v_sub_u32_e32 v5, v5, v8
	v_add_u32_e32 v8, v7, v9
	v_mul_lo_u32 v3, v3, s20
	v_mul_lo_u32 v5, v5, s21
	v_lshrrev_b32_e32 v8, s16, v8
	v_add3_u32 v5, v3, v6, v5
	v_mul_lo_u32 v3, v8, s6
	v_mul_hi_u32 v6, s18, v8
	v_sub_u32_e32 v3, v7, v3
	v_add_u32_e32 v6, v8, v6
	v_mul_lo_u32 v7, v3, s22
	v_lshrrev_b32_e32 v3, s19, v6
	s_add_i32 s56, s56, 4
	v_mul_lo_u32 v6, v3, s17
	s_add_u32 s54, s54, 16
	v_sub_u32_e32 v6, v8, v6
	s_addc_u32 s55, s55, 0
	v_mul_lo_u32 v6, v6, s23
	s_cmp_eq_u32 s67, s56
	v_add3_u32 v6, v7, v5, v6
	s_cbranch_scc0 .LBB29_72
; %bb.73:                               ;   in Loop: Header=BB29_9 Depth=1
	s_mov_b32 s2, s67
	s_andn2_b64 vcc, exec, s[52:53]
	s_cbranch_vccz .LBB29_77
	s_branch .LBB29_79
.LBB29_74:                              ;   in Loop: Header=BB29_9 Depth=1
                                        ; implicit-def: $vgpr6
	s_branch .LBB29_80
.LBB29_75:                              ;   in Loop: Header=BB29_9 Depth=1
	v_mov_b32_e32 v6, 0
	s_branch .LBB29_79
.LBB29_76:                              ;   in Loop: Header=BB29_9 Depth=1
	v_mov_b32_e32 v3, v4
	s_andn2_b64 vcc, exec, s[52:53]
	s_cbranch_vccnz .LBB29_79
.LBB29_77:                              ;   in Loop: Header=BB29_9 Depth=1
	s_lshl_b32 s0, s2, 2
	s_add_u32 s0, s44, s0
	s_addc_u32 s1, s45, 0
	s_mul_i32 s2, s2, 12
	s_add_u32 s2, s34, s2
	s_addc_u32 s3, s35, 0
	s_mov_b32 s4, s66
.LBB29_78:                              ;   Parent Loop BB29_9 Depth=1
                                        ; =>  This Inner Loop Header: Depth=2
	s_load_dwordx2 s[6:7], s[2:3], 0x4
	s_load_dword s5, s[2:3], 0xc
	s_load_dword s16, s[0:1], 0x0
	s_add_u32 s2, s2, 12
	s_addc_u32 s3, s3, 0
	s_waitcnt lgkmcnt(0)
	v_mul_hi_u32 v5, s7, v3
	v_add_u32_e32 v5, v3, v5
	v_lshrrev_b32_e32 v5, s5, v5
	s_add_u32 s0, s0, 4
	v_mul_lo_u32 v7, v5, s6
	s_addc_u32 s1, s1, 0
	s_add_i32 s4, s4, -1
	v_sub_u32_e32 v7, v3, v7
	s_cmp_lg_u32 s4, 0
	v_mov_b32_e32 v3, v5
	v_mad_u64_u32 v[6:7], s[6:7], v7, s16, v[6:7]
	s_cbranch_scc1 .LBB29_78
.LBB29_79:                              ;   in Loop: Header=BB29_9 Depth=1
	s_cbranch_execnz .LBB29_7
.LBB29_80:                              ;   in Loop: Header=BB29_9 Depth=1
	v_mul_hi_u32 v3, v4, s10
	v_add_u32_e32 v3, v3, v4
	v_lshrrev_b32_e32 v3, s11, v3
	v_mul_lo_u32 v5, v3, s9
	v_sub_u32_e32 v4, v4, v5
	s_andn2_b64 vcc, exec, s[48:49]
	v_mul_lo_u32 v6, v4, s46
	s_cbranch_vccnz .LBB29_7
; %bb.81:                               ;   in Loop: Header=BB29_9 Depth=1
	v_mul_hi_u32 v4, s13, v3
	v_add_u32_e32 v4, v3, v4
	v_lshrrev_b32_e32 v4, s14, v4
	v_mul_lo_u32 v4, v4, s12
	v_sub_u32_e32 v3, v3, v4
	v_mad_u64_u32 v[6:7], s[0:1], v3, s47, v[6:7]
	s_branch .LBB29_7
.LBB29_82:
	s_endpgm
.LBB29_83:
                                        ; implicit-def: $sgpr2_sgpr3
	s_andn2_b64 vcc, exec, s[0:1]
	s_cbranch_vccz .LBB29_4
	s_branch .LBB29_5
	.section	.rodata,"a",@progbits
	.p2align	6, 0x0
	.amdhsa_kernel _ZN2at6native12_GLOBAL__N_143distribution_elementwise_grid_stride_kernelIfLi4EZNS0_9templates4cuda21uniform_and_transformIN3c104HalfEfPNS_17CUDAGeneratorImplEZZZNS4_16geometric_kernelIS9_EEvRNS_18TensorIteratorBaseEdT_ENKUlvE_clEvENKUlvE6_clEvEUlfE_EEvSC_T1_T2_EUlP25hiprandStatePhilox4_32_10E_ZNS1_27distribution_nullary_kernelIS7_f15HIP_vector_typeIdLj2EES9_SL_SG_EEvSC_SI_RKT3_T4_EUlifE0_EEvlNS_15PhiloxCudaStateESH_SI_
		.amdhsa_group_segment_fixed_size 0
		.amdhsa_private_segment_fixed_size 0
		.amdhsa_kernarg_size 584
		.amdhsa_user_sgpr_count 6
		.amdhsa_user_sgpr_private_segment_buffer 1
		.amdhsa_user_sgpr_dispatch_ptr 0
		.amdhsa_user_sgpr_queue_ptr 0
		.amdhsa_user_sgpr_kernarg_segment_ptr 1
		.amdhsa_user_sgpr_dispatch_id 0
		.amdhsa_user_sgpr_flat_scratch_init 0
		.amdhsa_user_sgpr_kernarg_preload_length 0
		.amdhsa_user_sgpr_kernarg_preload_offset 0
		.amdhsa_user_sgpr_private_segment_size 0
		.amdhsa_uses_dynamic_stack 0
		.amdhsa_system_sgpr_private_segment_wavefront_offset 0
		.amdhsa_system_sgpr_workgroup_id_x 1
		.amdhsa_system_sgpr_workgroup_id_y 0
		.amdhsa_system_sgpr_workgroup_id_z 0
		.amdhsa_system_sgpr_workgroup_info 0
		.amdhsa_system_vgpr_workitem_id 0
		.amdhsa_next_free_vgpr 46
		.amdhsa_next_free_sgpr 70
		.amdhsa_accum_offset 48
		.amdhsa_reserve_vcc 1
		.amdhsa_reserve_flat_scratch 0
		.amdhsa_float_round_mode_32 0
		.amdhsa_float_round_mode_16_64 0
		.amdhsa_float_denorm_mode_32 3
		.amdhsa_float_denorm_mode_16_64 3
		.amdhsa_dx10_clamp 1
		.amdhsa_ieee_mode 1
		.amdhsa_fp16_overflow 0
		.amdhsa_tg_split 0
		.amdhsa_exception_fp_ieee_invalid_op 0
		.amdhsa_exception_fp_denorm_src 0
		.amdhsa_exception_fp_ieee_div_zero 0
		.amdhsa_exception_fp_ieee_overflow 0
		.amdhsa_exception_fp_ieee_underflow 0
		.amdhsa_exception_fp_ieee_inexact 0
		.amdhsa_exception_int_div_zero 0
	.end_amdhsa_kernel
	.section	.text._ZN2at6native12_GLOBAL__N_143distribution_elementwise_grid_stride_kernelIfLi4EZNS0_9templates4cuda21uniform_and_transformIN3c104HalfEfPNS_17CUDAGeneratorImplEZZZNS4_16geometric_kernelIS9_EEvRNS_18TensorIteratorBaseEdT_ENKUlvE_clEvENKUlvE6_clEvEUlfE_EEvSC_T1_T2_EUlP25hiprandStatePhilox4_32_10E_ZNS1_27distribution_nullary_kernelIS7_f15HIP_vector_typeIdLj2EES9_SL_SG_EEvSC_SI_RKT3_T4_EUlifE0_EEvlNS_15PhiloxCudaStateESH_SI_,"axG",@progbits,_ZN2at6native12_GLOBAL__N_143distribution_elementwise_grid_stride_kernelIfLi4EZNS0_9templates4cuda21uniform_and_transformIN3c104HalfEfPNS_17CUDAGeneratorImplEZZZNS4_16geometric_kernelIS9_EEvRNS_18TensorIteratorBaseEdT_ENKUlvE_clEvENKUlvE6_clEvEUlfE_EEvSC_T1_T2_EUlP25hiprandStatePhilox4_32_10E_ZNS1_27distribution_nullary_kernelIS7_f15HIP_vector_typeIdLj2EES9_SL_SG_EEvSC_SI_RKT3_T4_EUlifE0_EEvlNS_15PhiloxCudaStateESH_SI_,comdat
.Lfunc_end29:
	.size	_ZN2at6native12_GLOBAL__N_143distribution_elementwise_grid_stride_kernelIfLi4EZNS0_9templates4cuda21uniform_and_transformIN3c104HalfEfPNS_17CUDAGeneratorImplEZZZNS4_16geometric_kernelIS9_EEvRNS_18TensorIteratorBaseEdT_ENKUlvE_clEvENKUlvE6_clEvEUlfE_EEvSC_T1_T2_EUlP25hiprandStatePhilox4_32_10E_ZNS1_27distribution_nullary_kernelIS7_f15HIP_vector_typeIdLj2EES9_SL_SG_EEvSC_SI_RKT3_T4_EUlifE0_EEvlNS_15PhiloxCudaStateESH_SI_, .Lfunc_end29-_ZN2at6native12_GLOBAL__N_143distribution_elementwise_grid_stride_kernelIfLi4EZNS0_9templates4cuda21uniform_and_transformIN3c104HalfEfPNS_17CUDAGeneratorImplEZZZNS4_16geometric_kernelIS9_EEvRNS_18TensorIteratorBaseEdT_ENKUlvE_clEvENKUlvE6_clEvEUlfE_EEvSC_T1_T2_EUlP25hiprandStatePhilox4_32_10E_ZNS1_27distribution_nullary_kernelIS7_f15HIP_vector_typeIdLj2EES9_SL_SG_EEvSC_SI_RKT3_T4_EUlifE0_EEvlNS_15PhiloxCudaStateESH_SI_
                                        ; -- End function
	.section	.AMDGPU.csdata,"",@progbits
; Kernel info:
; codeLenInByte = 5432
; NumSgprs: 74
; NumVgprs: 46
; NumAgprs: 0
; TotalNumVgprs: 46
; ScratchSize: 0
; MemoryBound: 0
; FloatMode: 240
; IeeeMode: 1
; LDSByteSize: 0 bytes/workgroup (compile time only)
; SGPRBlocks: 9
; VGPRBlocks: 5
; NumSGPRsForWavesPerEU: 74
; NumVGPRsForWavesPerEU: 46
; AccumOffset: 48
; Occupancy: 8
; WaveLimiterHint : 1
; COMPUTE_PGM_RSRC2:SCRATCH_EN: 0
; COMPUTE_PGM_RSRC2:USER_SGPR: 6
; COMPUTE_PGM_RSRC2:TRAP_HANDLER: 0
; COMPUTE_PGM_RSRC2:TGID_X_EN: 1
; COMPUTE_PGM_RSRC2:TGID_Y_EN: 0
; COMPUTE_PGM_RSRC2:TGID_Z_EN: 0
; COMPUTE_PGM_RSRC2:TIDIG_COMP_CNT: 0
; COMPUTE_PGM_RSRC3_GFX90A:ACCUM_OFFSET: 11
; COMPUTE_PGM_RSRC3_GFX90A:TG_SPLIT: 0
	.section	.text._ZN2at6native12_GLOBAL__N_143distribution_elementwise_grid_stride_kernelIfLi4EZNS0_9templates4cuda21uniform_and_transformIN3c104HalfEfPNS_17CUDAGeneratorImplEZZZNS4_16geometric_kernelIS9_EEvRNS_18TensorIteratorBaseEdT_ENKUlvE_clEvENKUlvE6_clEvEUlfE_EEvSC_T1_T2_EUlP25hiprandStatePhilox4_32_10E0_ZNS1_27distribution_nullary_kernelIS7_f15HIP_vector_typeIfLj4EES9_SL_SG_EEvSC_SI_RKT3_T4_EUlifE_EEvlNS_15PhiloxCudaStateESH_SI_,"axG",@progbits,_ZN2at6native12_GLOBAL__N_143distribution_elementwise_grid_stride_kernelIfLi4EZNS0_9templates4cuda21uniform_and_transformIN3c104HalfEfPNS_17CUDAGeneratorImplEZZZNS4_16geometric_kernelIS9_EEvRNS_18TensorIteratorBaseEdT_ENKUlvE_clEvENKUlvE6_clEvEUlfE_EEvSC_T1_T2_EUlP25hiprandStatePhilox4_32_10E0_ZNS1_27distribution_nullary_kernelIS7_f15HIP_vector_typeIfLj4EES9_SL_SG_EEvSC_SI_RKT3_T4_EUlifE_EEvlNS_15PhiloxCudaStateESH_SI_,comdat
	.globl	_ZN2at6native12_GLOBAL__N_143distribution_elementwise_grid_stride_kernelIfLi4EZNS0_9templates4cuda21uniform_and_transformIN3c104HalfEfPNS_17CUDAGeneratorImplEZZZNS4_16geometric_kernelIS9_EEvRNS_18TensorIteratorBaseEdT_ENKUlvE_clEvENKUlvE6_clEvEUlfE_EEvSC_T1_T2_EUlP25hiprandStatePhilox4_32_10E0_ZNS1_27distribution_nullary_kernelIS7_f15HIP_vector_typeIfLj4EES9_SL_SG_EEvSC_SI_RKT3_T4_EUlifE_EEvlNS_15PhiloxCudaStateESH_SI_ ; -- Begin function _ZN2at6native12_GLOBAL__N_143distribution_elementwise_grid_stride_kernelIfLi4EZNS0_9templates4cuda21uniform_and_transformIN3c104HalfEfPNS_17CUDAGeneratorImplEZZZNS4_16geometric_kernelIS9_EEvRNS_18TensorIteratorBaseEdT_ENKUlvE_clEvENKUlvE6_clEvEUlfE_EEvSC_T1_T2_EUlP25hiprandStatePhilox4_32_10E0_ZNS1_27distribution_nullary_kernelIS7_f15HIP_vector_typeIfLj4EES9_SL_SG_EEvSC_SI_RKT3_T4_EUlifE_EEvlNS_15PhiloxCudaStateESH_SI_
	.p2align	8
	.type	_ZN2at6native12_GLOBAL__N_143distribution_elementwise_grid_stride_kernelIfLi4EZNS0_9templates4cuda21uniform_and_transformIN3c104HalfEfPNS_17CUDAGeneratorImplEZZZNS4_16geometric_kernelIS9_EEvRNS_18TensorIteratorBaseEdT_ENKUlvE_clEvENKUlvE6_clEvEUlfE_EEvSC_T1_T2_EUlP25hiprandStatePhilox4_32_10E0_ZNS1_27distribution_nullary_kernelIS7_f15HIP_vector_typeIfLj4EES9_SL_SG_EEvSC_SI_RKT3_T4_EUlifE_EEvlNS_15PhiloxCudaStateESH_SI_,@function
_ZN2at6native12_GLOBAL__N_143distribution_elementwise_grid_stride_kernelIfLi4EZNS0_9templates4cuda21uniform_and_transformIN3c104HalfEfPNS_17CUDAGeneratorImplEZZZNS4_16geometric_kernelIS9_EEvRNS_18TensorIteratorBaseEdT_ENKUlvE_clEvENKUlvE6_clEvEUlfE_EEvSC_T1_T2_EUlP25hiprandStatePhilox4_32_10E0_ZNS1_27distribution_nullary_kernelIS7_f15HIP_vector_typeIfLj4EES9_SL_SG_EEvSC_SI_RKT3_T4_EUlifE_EEvlNS_15PhiloxCudaStateESH_SI_: ; @_ZN2at6native12_GLOBAL__N_143distribution_elementwise_grid_stride_kernelIfLi4EZNS0_9templates4cuda21uniform_and_transformIN3c104HalfEfPNS_17CUDAGeneratorImplEZZZNS4_16geometric_kernelIS9_EEvRNS_18TensorIteratorBaseEdT_ENKUlvE_clEvENKUlvE6_clEvEUlfE_EEvSC_T1_T2_EUlP25hiprandStatePhilox4_32_10E0_ZNS1_27distribution_nullary_kernelIS7_f15HIP_vector_typeIfLj4EES9_SL_SG_EEvSC_SI_RKT3_T4_EUlifE_EEvlNS_15PhiloxCudaStateESH_SI_
; %bb.0:
	s_load_dword s7, s[4:5], 0x20
	s_load_dwordx2 s[10:11], s[4:5], 0x10
	s_load_dwordx4 s[0:3], s[4:5], 0x0
	s_mov_b32 s8, 0
	s_waitcnt lgkmcnt(0)
	s_bitcmp0_b32 s7, 0
	v_pk_mov_b32 v[2:3], s[10:11], s[10:11] op_sel:[0,1]
	v_pk_mov_b32 v[14:15], s[2:3], s[2:3] op_sel:[0,1]
	s_cbranch_scc1 .LBB30_2
; %bb.1:
	v_pk_mov_b32 v[2:3], s[10:11], s[10:11] op_sel:[0,1]
	flat_load_dwordx2 v[2:3], v[2:3]
	v_pk_mov_b32 v[4:5], s[2:3], s[2:3] op_sel:[0,1]
	flat_load_dwordx2 v[14:15], v[4:5]
	s_load_dwordx2 s[2:3], s[4:5], 0x18
	s_waitcnt lgkmcnt(0)
	v_mov_b32_e32 v1, s3
	s_waitcnt vmcnt(0)
	v_add_co_u32_e32 v2, vcc, s2, v2
	v_addc_co_u32_e32 v3, vcc, v3, v1, vcc
.LBB30_2:
	s_load_dword s2, s[4:5], 0x54
	s_load_dword s21, s[4:5], 0x48
	s_waitcnt lgkmcnt(0)
	s_and_b32 s7, s2, 0xffff
	s_add_u32 s10, s0, -1
	s_mul_i32 s12, s21, s7
	s_addc_u32 s9, s1, -1
	s_lshl_b32 s13, s12, 2
	s_cmp_lg_u64 s[8:9], 0
	s_mov_b64 s[2:3], -1
	s_cbranch_scc0 .LBB30_27
; %bb.3:
	v_cvt_f32_u32_e32 v1, s13
	v_cvt_f32_ubyte0_e32 v4, 0
	s_sub_u32 s8, 0, s13
	s_subb_u32 s11, 0, 0
	v_madmk_f32 v1, v4, 0x4f800000, v1
	v_rcp_f32_e32 v1, v1
	v_mul_f32_e32 v1, 0x5f7ffffc, v1
	v_mul_f32_e32 v4, 0x2f800000, v1
	v_trunc_f32_e32 v4, v4
	v_madmk_f32 v1, v4, 0xcf800000, v1
	v_cvt_u32_f32_e32 v4, v4
	v_cvt_u32_f32_e32 v1, v1
	v_readfirstlane_b32 s14, v4
	v_readfirstlane_b32 s15, v1
	s_mul_i32 s16, s8, s14
	s_mul_hi_u32 s18, s8, s15
	s_mul_i32 s17, s11, s15
	s_add_i32 s16, s18, s16
	s_add_i32 s16, s16, s17
	s_mul_i32 s19, s8, s15
	s_mul_hi_u32 s17, s15, s16
	s_mul_i32 s18, s15, s16
	s_mul_hi_u32 s15, s15, s19
	s_add_u32 s15, s15, s18
	s_addc_u32 s17, 0, s17
	s_mul_hi_u32 s20, s14, s19
	s_mul_i32 s19, s14, s19
	s_add_u32 s15, s15, s19
	s_mul_hi_u32 s18, s14, s16
	s_addc_u32 s15, s17, s20
	s_addc_u32 s17, s18, 0
	s_mul_i32 s16, s14, s16
	s_add_u32 s15, s15, s16
	s_addc_u32 s16, 0, s17
	v_add_co_u32_e32 v1, vcc, s15, v1
	s_cmp_lg_u64 vcc, 0
	s_addc_u32 s14, s14, s16
	v_readfirstlane_b32 s16, v1
	s_mul_i32 s15, s8, s14
	s_mul_hi_u32 s17, s8, s16
	s_add_i32 s15, s17, s15
	s_mul_i32 s11, s11, s16
	s_add_i32 s15, s15, s11
	s_mul_i32 s8, s8, s16
	s_mul_hi_u32 s17, s14, s8
	s_mul_i32 s18, s14, s8
	s_mul_i32 s20, s16, s15
	s_mul_hi_u32 s8, s16, s8
	s_mul_hi_u32 s19, s16, s15
	s_add_u32 s8, s8, s20
	s_addc_u32 s16, 0, s19
	s_add_u32 s8, s8, s18
	s_mul_hi_u32 s11, s14, s15
	s_addc_u32 s8, s16, s17
	s_addc_u32 s11, s11, 0
	s_mul_i32 s15, s14, s15
	s_add_u32 s8, s8, s15
	s_addc_u32 s11, 0, s11
	v_add_co_u32_e32 v1, vcc, s8, v1
	s_cmp_lg_u64 vcc, 0
	s_addc_u32 s11, s14, s11
	s_ashr_i32 s14, s9, 31
	s_add_u32 s8, s10, s14
	s_mov_b32 s15, s14
	s_addc_u32 s9, s9, s14
	s_xor_b64 s[8:9], s[8:9], s[14:15]
	v_readfirstlane_b32 s18, v1
	s_mul_i32 s17, s8, s11
	s_mul_hi_u32 s19, s8, s18
	s_mul_hi_u32 s16, s8, s11
	s_add_u32 s17, s19, s17
	s_addc_u32 s16, 0, s16
	s_mul_hi_u32 s20, s9, s18
	s_mul_i32 s18, s9, s18
	s_add_u32 s17, s17, s18
	s_mul_hi_u32 s19, s9, s11
	s_addc_u32 s16, s16, s20
	s_addc_u32 s17, s19, 0
	s_mul_i32 s11, s9, s11
	s_add_u32 s11, s16, s11
	s_addc_u32 s16, 0, s17
	s_add_u32 s17, s11, 1
	s_addc_u32 s18, s16, 0
	s_add_u32 s19, s11, 2
	s_mul_i32 s22, s13, s16
	s_mul_hi_u32 s23, s13, s11
	s_addc_u32 s20, s16, 0
	s_add_i32 s23, s23, s22
	s_mul_i32 s22, s13, s11
	v_mov_b32_e32 v1, s22
	v_sub_co_u32_e32 v1, vcc, s8, v1
	s_cmp_lg_u64 vcc, 0
	s_subb_u32 s8, s9, s23
	v_subrev_co_u32_e32 v4, vcc, s13, v1
	s_cmp_lg_u64 vcc, 0
	s_subb_u32 s9, s8, 0
	v_readfirstlane_b32 s22, v4
	s_cmp_ge_u32 s22, s13
	s_cselect_b32 s22, -1, 0
	s_cmp_eq_u32 s9, 0
	s_cselect_b32 s9, s22, -1
	s_cmp_lg_u32 s9, 0
	s_cselect_b32 s9, s20, s18
	v_readfirstlane_b32 s18, v1
	s_cselect_b32 s17, s19, s17
	s_cmp_ge_u32 s18, s13
	s_cselect_b32 s18, -1, 0
	s_cmp_eq_u32 s8, 0
	s_cselect_b32 s8, s18, -1
	s_cmp_lg_u32 s8, 0
	s_cselect_b32 s9, s9, s16
	s_cselect_b32 s8, s17, s11
	s_xor_b64 s[8:9], s[8:9], s[14:15]
	s_sub_u32 s8, s8, s14
	s_subb_u32 s9, s9, s14
	s_cbranch_execnz .LBB30_5
.LBB30_4:
	v_cvt_f32_u32_e32 v1, s13
	s_sub_i32 s2, 0, s13
	s_mov_b32 s9, 0
	v_rcp_iflag_f32_e32 v1, v1
	v_mul_f32_e32 v1, 0x4f7ffffe, v1
	v_cvt_u32_f32_e32 v1, v1
	v_readfirstlane_b32 s3, v1
	s_mul_i32 s2, s2, s3
	s_mul_hi_u32 s2, s3, s2
	s_add_i32 s3, s3, s2
	s_mul_hi_u32 s2, s10, s3
	s_mul_i32 s8, s2, s13
	s_sub_i32 s8, s10, s8
	s_add_i32 s3, s2, 1
	s_sub_i32 s10, s8, s13
	s_cmp_ge_u32 s8, s13
	s_cselect_b32 s2, s3, s2
	s_cselect_b32 s8, s10, s8
	s_add_i32 s3, s2, 1
	s_cmp_ge_u32 s8, s13
	s_cselect_b32 s8, s3, s2
.LBB30_5:
	v_mov_b32_e32 v1, 0
	v_mov_b32_e32 v4, s6
	v_mad_u64_u32 v[16:17], s[2:3], s7, v4, v[0:1]
	s_add_u32 s2, s8, 1
	s_addc_u32 s3, s9, 0
	s_mul_hi_u32 s8, s21, s7
	s_mul_i32 s3, s12, s3
	s_mul_hi_u32 s9, s12, s2
	s_add_i32 s3, s9, s3
	s_mul_i32 s8, s8, s2
	s_add_i32 s3, s3, s8
	s_mul_i32 s2, s12, s2
	s_lshl_b64 s[2:3], s[2:3], 2
	v_cmp_gt_i64_e32 vcc, s[2:3], v[16:17]
	s_and_saveexec_b64 s[8:9], vcc
	s_cbranch_execz .LBB30_26
; %bb.6:
	s_load_dwordx2 s[8:9], s[4:5], 0x30
	s_load_dword s23, s[4:5], 0x38
	s_load_dwordx2 s[10:11], s[4:5], 0x40
	s_mov_b32 s4, 0x5384540f
	v_mov_b32_e32 v4, v15
	v_add_co_u32_e32 v22, vcc, s4, v14
	s_mov_b32 s4, 0x646e171e
	v_add_co_u32_e32 v23, vcc, s4, v4
	s_mov_b32 s4, 0x1715609d
	;; [unrolled: 2-line block ×6, first 2 shown]
	v_alignbit_b32 v29, v3, v2, 2
	s_mov_b32 s15, 0xd2511f53
	v_add_co_u32_e32 v28, vcc, s4, v14
	v_mad_u64_u32 v[6:7], s[4:5], v29, s15, 0
	v_xor_b32_e32 v1, v7, v15
	v_xor_b32_e32 v1, v1, v17
	s_mov_b32 s16, 0xcd9e8d57
	v_mad_u64_u32 v[8:9], s[4:5], v1, s16, 0
	v_xor_b32_e32 v1, v28, v9
	v_mad_u64_u32 v[10:11], s[4:5], v16, s16, 0
	v_and_b32_e32 v18, 3, v2
	v_xor_b32_e32 v1, v1, v10
	v_xor_b32_e32 v2, v14, v11
	v_lshrrev_b32_e32 v30, 2, v3
	v_mad_u64_u32 v[12:13], s[4:5], v1, s15, 0
	v_xor_b32_e32 v2, v2, v30
	v_xor_b32_e32 v1, v27, v13
	v_mad_u64_u32 v[2:3], s[4:5], v2, s15, 0
	v_xor_b32_e32 v1, v1, v2
	v_mad_u64_u32 v[10:11], s[4:5], v1, s16, 0
	s_mov_b32 s4, 0xbb67ae85
	v_add_co_u32_e32 v31, vcc, s4, v4
	v_xor_b32_e32 v2, v31, v3
	v_xor_b32_e32 v2, v2, v6
	v_xor_b32_e32 v1, v26, v11
	v_mad_u64_u32 v[2:3], s[4:5], v2, s16, 0
	v_xor_b32_e32 v1, v1, v2
	v_mad_u64_u32 v[6:7], s[4:5], v1, s15, 0
	s_mov_b32 s4, 0x3c6ef372
	v_add_co_u32_e32 v32, vcc, s4, v14
	v_xor_b32_e32 v2, v32, v3
	;; [unrolled: 8-line block ×6, first 2 shown]
	v_add_co_u32_e32 v21, vcc, 0xdb3d7428, v4
	v_xor_b32_e32 v2, v2, v8
	v_xor_b32_e32 v1, v21, v7
	v_mad_u64_u32 v[2:3], s[4:5], v2, s15, 0
	v_xor_b32_e32 v1, v1, v2
	v_mad_u64_u32 v[8:9], s[4:5], v1, s16, 0
	s_mov_b32 s4, 0x1fd5c5a3
	v_add_co_u32_e32 v37, vcc, s4, v4
	v_xor_b32_e32 v1, v37, v3
	v_xor_b32_e32 v1, v1, v12
	v_mad_u64_u32 v[2:3], s[4:5], v1, s16, 0
	s_mov_b32 s4, 0xf1bbcdc8
	v_add_u32_e32 v19, 0x8ff34781, v14
	v_xor_b32_e32 v1, v9, v2
	v_add_co_u32_e32 v38, vcc, s4, v14
	v_xor_b32_e32 v2, v19, v1
	v_xor_b32_e32 v1, v38, v3
	;; [unrolled: 1-line block ×3, first 2 shown]
	v_mad_u64_u32 v[10:11], s[4:5], v1, s15, 0
	v_add_u32_e32 v20, 0x96a522ad, v15
	v_xor_b32_e32 v1, v11, v6
	v_xor_b32_e32 v4, v20, v1
	s_waitcnt lgkmcnt(0)
	v_cvt_f32_f64_e32 v1, s[10:11]
	v_mov_b32_e32 v3, v8
	v_sub_f32_e32 v8, 1.0, v1
	v_add_f32_e32 v6, -1.0, v8
	v_sub_f32_e32 v7, v6, v8
	v_add_f32_e32 v7, 1.0, v7
	v_sub_f32_e64 v6, -v1, v6
	v_mov_b32_e32 v5, v10
	v_add_f32_e32 v9, v6, v7
	v_frexp_mant_f32_e32 v10, v8
	s_mov_b32 s4, 0x3f2aaaab
	v_cvt_f64_f32_e32 v[6:7], v8
	v_frexp_exp_i32_f64_e32 v6, v[6:7]
	v_cmp_gt_f32_e32 vcc, s4, v10
	v_subbrev_co_u32_e32 v6, vcc, 0, v6, vcc
	v_sub_u32_e32 v7, 0, v6
	v_ldexp_f32 v8, v8, v7
	v_ldexp_f32 v7, v9, v7
	v_add_f32_e32 v9, -1.0, v8
	v_add_f32_e32 v12, 1.0, v8
	v_add_f32_e32 v10, 1.0, v9
	v_add_f32_e32 v13, -1.0, v12
	v_sub_f32_e32 v10, v8, v10
	v_sub_f32_e32 v8, v8, v13
	v_add_f32_e32 v10, v7, v10
	v_add_f32_e32 v7, v7, v8
	;; [unrolled: 1-line block ×3, first 2 shown]
	v_rcp_f32_e32 v13, v8
	v_add_f32_e32 v11, v9, v10
	v_sub_f32_e32 v9, v11, v9
	v_sub_f32_e32 v9, v10, v9
	;; [unrolled: 1-line block ×4, first 2 shown]
	v_mul_f32_e32 v10, v11, v13
	v_mul_f32_e32 v12, v8, v10
	v_fma_f32 v39, v10, v8, -v12
	v_fmac_f32_e32 v39, v10, v7
	v_add_f32_e32 v40, v12, v39
	v_sub_f32_e32 v41, v11, v40
	v_sub_f32_e32 v11, v11, v41
	;; [unrolled: 1-line block ×4, first 2 shown]
	v_add_f32_e32 v9, v9, v11
	v_sub_f32_e32 v11, v12, v39
	v_add_f32_e32 v9, v11, v9
	v_add_f32_e32 v11, v41, v9
	v_mul_f32_e32 v12, v13, v11
	v_mul_f32_e32 v39, v8, v12
	v_fma_f32 v8, v12, v8, -v39
	v_fmac_f32_e32 v8, v12, v7
	v_sub_f32_e32 v7, v41, v11
	v_add_f32_e32 v7, v9, v7
	v_add_f32_e32 v9, v39, v8
	v_sub_f32_e32 v40, v11, v9
	v_sub_f32_e32 v11, v11, v40
	v_sub_f32_e32 v39, v9, v39
	v_sub_f32_e32 v9, v11, v9
	v_add_f32_e32 v7, v7, v9
	v_sub_f32_e32 v8, v39, v8
	v_add_f32_e32 v7, v8, v7
	v_add_f32_e32 v8, v10, v12
	v_add_f32_e32 v7, v40, v7
	v_sub_f32_e32 v9, v8, v10
	v_mul_f32_e32 v7, v13, v7
	v_sub_f32_e32 v9, v12, v9
	v_add_f32_e32 v7, v9, v7
	v_cvt_f32_i32_e32 v6, v6
	v_add_f32_e32 v9, v8, v7
	v_mul_f32_e32 v10, v9, v9
	v_mov_b32_e32 v11, 0x3ecc95a3
	v_fmac_f32_e32 v11, 0x3e9b6dac, v10
	v_mov_b32_e32 v12, 0x3f2aaada
	v_fmac_f32_e32 v12, v10, v11
	s_mov_b32 s4, 0x3f317218
	v_mul_f32_e32 v11, 0x3f317218, v6
	v_fma_f32 v13, v6, s4, -v11
	v_fmac_f32_e32 v13, 0xb102e308, v6
	v_sub_f32_e32 v6, v9, v8
	v_sub_f32_e32 v6, v7, v6
	v_add_f32_e32 v7, v11, v13
	v_sub_f32_e32 v8, v7, v11
	v_ldexp_f32 v11, v9, 1
	v_mul_f32_e32 v9, v9, v10
	v_mul_f32_e32 v9, v9, v12
	v_add_f32_e32 v10, v11, v9
	v_sub_f32_e32 v11, v10, v11
	v_ldexp_f32 v6, v6, 1
	v_sub_f32_e32 v9, v9, v11
	v_add_f32_e32 v6, v6, v9
	v_add_f32_e32 v9, v10, v6
	v_sub_f32_e32 v10, v9, v10
	v_sub_f32_e32 v6, v6, v10
	v_add_f32_e32 v10, v7, v9
	v_sub_f32_e32 v11, v10, v7
	v_sub_f32_e32 v12, v10, v11
	;; [unrolled: 1-line block ×5, first 2 shown]
	v_add_f32_e32 v7, v9, v7
	v_add_f32_e32 v9, v8, v6
	v_sub_f32_e32 v11, v9, v8
	v_sub_f32_e32 v12, v9, v11
	;; [unrolled: 1-line block ×4, first 2 shown]
	v_add_f32_e32 v7, v9, v7
	v_add_f32_e32 v6, v6, v8
	;; [unrolled: 1-line block ×3, first 2 shown]
	v_sub_f32_e32 v9, v8, v10
	v_sub_f32_e32 v7, v7, v9
	v_add_f32_e32 v6, v6, v7
	s_mov_b32 s4, 0xff800000
	v_add_f32_e32 v6, v8, v6
	v_cmp_eq_f32_e32 vcc, s4, v1
	v_cndmask_b32_e64 v6, v6, -v1, vcc
	v_mov_b32_e32 v7, 0x7fc00000
	v_cmp_nlt_f32_e32 vcc, 1.0, v1
	v_cndmask_b32_e32 v6, v7, v6, vcc
	v_mov_b32_e32 v7, 0xff800000
	v_cmp_neq_f32_e32 vcc, 1.0, v1
	s_mov_b32 s4, 0x33800000
	v_cndmask_b32_e32 v6, v7, v6, vcc
	v_cmp_lt_f32_e64 s[4:5], |v1|, s4
	v_cndmask_b32_e64 v39, v6, -v1, s[4:5]
	s_mul_i32 s4, s6, s7
	v_add_u32_e32 v1, s4, v0
	s_mul_i32 s4, s21, s23
	s_mul_i32 s4, s4, s7
	s_lshl_b32 s22, s4, 2
	s_mul_i32 s4, s21, 3
	s_add_i32 s4, s6, s4
	s_mul_i32 s4, s4, s7
	v_mul_lo_u32 v40, s23, v1
	v_add_u32_e32 v1, s4, v0
	s_lshl_b32 s4, s21, 1
	s_add_i32 s4, s6, s4
	s_mul_i32 s4, s4, s7
	v_mul_lo_u32 v41, s23, v1
	v_add_u32_e32 v1, s4, v0
	s_add_i32 s4, s6, s21
	s_mul_i32 s4, s4, s7
	s_mov_b32 s14, 0
	v_add_u32_e32 v0, s4, v0
	s_lshl_b32 s17, s12, 1
	s_mov_b32 s18, s14
	s_mul_i32 s19, s12, 3
	s_mov_b32 s20, s14
	v_mul_lo_u32 v42, s23, v1
	v_mul_lo_u32 v43, s23, v0
	s_mov_b64 s[4:5], 0
	s_mov_b32 s21, 0x800000
	s_mov_b32 s23, 0x3f317217
	;; [unrolled: 1-line block ×3, first 2 shown]
	v_mov_b32_e32 v44, 0x4f800000
	v_mov_b32_e32 v45, 0x41b17218
	s_mov_b32 s25, s14
	v_mov_b32_e32 v46, v16
	v_mov_b32_e32 v47, v17
	s_branch .LBB30_8
.LBB30_7:                               ;   in Loop: Header=BB30_8 Depth=1
	s_or_b64 exec, exec, s[6:7]
	v_add_co_u32_e32 v16, vcc, s13, v16
	v_addc_co_u32_e32 v17, vcc, 0, v17, vcc
	v_mov_b32_e32 v9, v0
	s_add_i32 s25, s25, s22
	v_cmp_le_i64_e32 vcc, s[2:3], v[16:17]
	v_pk_mov_b32 v[2:3], v[6:7], v[6:7] op_sel:[0,1]
	s_or_b64 s[4:5], vcc, s[4:5]
	v_pk_mov_b32 v[4:5], v[8:9], v[8:9] op_sel:[0,1]
	s_barrier
	s_andn2_b64 exec, exec, s[4:5]
	s_cbranch_execz .LBB30_26
.LBB30_8:                               ; =>This Inner Loop Header: Depth=1
	v_add_co_u32_e32 v29, vcc, 1, v29
	v_cndmask_b32_e64 v0, 0, 1, vcc
	v_addc_co_u32_e32 v30, vcc, 0, v30, vcc
	v_cmp_eq_u32_e32 vcc, 0, v30
	v_cndmask_b32_e32 v0, 0, v0, vcc
	v_add_u32_e32 v46, v0, v46
	v_cmp_eq_u32_e32 vcc, 0, v46
	v_cndmask_b32_e32 v0, 0, v0, vcc
	v_add_u32_e32 v47, v0, v47
	v_mad_u64_u32 v[0:1], s[6:7], v29, s15, 0
	v_mad_u64_u32 v[6:7], s[6:7], v46, s16, 0
	v_xor_b32_e32 v1, v1, v15
	v_xor_b32_e32 v7, v7, v14
	v_xor_b32_e32 v1, v47, v1
	v_xor_b32_e32 v7, v30, v7
	v_mad_u64_u32 v[10:11], s[6:7], v1, s16, 0
	v_mad_u64_u32 v[8:9], s[6:7], v7, s15, 0
	v_xor_b32_e32 v1, v28, v11
	v_xor_b32_e32 v1, v1, v6
	v_xor_b32_e32 v6, v31, v9
	v_xor_b32_e32 v6, v6, v0
	;; [unrolled: 6-line block ×10, first 2 shown]
	v_mov_b32_e32 v7, v12
	v_mov_b32_e32 v8, v13
	v_cmp_lt_i32_e32 vcc, 1, v18
	s_and_saveexec_b64 s[6:7], vcc
	s_xor_b64 s[6:7], exec, s[6:7]
	s_cbranch_execnz .LBB30_18
; %bb.9:                                ;   in Loop: Header=BB30_8 Depth=1
	s_andn2_saveexec_b64 s[6:7], s[6:7]
	s_cbranch_execnz .LBB30_23
.LBB30_10:                              ;   in Loop: Header=BB30_8 Depth=1
	s_or_b64 exec, exec, s[6:7]
	v_cmp_gt_i64_e32 vcc, s[0:1], v[16:17]
	s_and_saveexec_b64 s[6:7], vcc
	s_cbranch_execz .LBB30_12
.LBB30_11:                              ;   in Loop: Header=BB30_8 Depth=1
	v_cvt_f32_u32_e32 v1, v2
	v_mov_b32_e32 v2, 0x2f800000
	v_mov_b32_e32 v11, s9
	v_fmac_f32_e32 v2, 0x2f800000, v1
	v_cmp_gt_f32_e32 vcc, s21, v2
	v_cndmask_b32_e32 v1, 1.0, v44, vcc
	v_mul_f32_e32 v1, v2, v1
	v_log_f32_e32 v1, v1
	v_cndmask_b32_e32 v2, 0, v45, vcc
	v_mul_f32_e32 v9, 0x3f317217, v1
	v_fma_f32 v10, v1, s23, -v9
	v_fmac_f32_e32 v10, 0x3377d1cf, v1
	v_add_f32_e32 v9, v9, v10
	v_cmp_lt_f32_e64 vcc, |v1|, s24
	v_cndmask_b32_e32 v1, v1, v9, vcc
	v_sub_f32_e32 v1, v1, v2
	v_div_scale_f32 v2, s[10:11], v39, v39, v1
	v_rcp_f32_e32 v9, v2
	v_add_u32_e32 v10, s25, v40
	v_ashrrev_i32_e32 v12, 31, v10
	v_fma_f32 v13, -v2, v9, 1.0
	v_fmac_f32_e32 v9, v13, v9
	v_div_scale_f32 v13, vcc, v1, v39, v1
	v_mul_f32_e32 v48, v13, v9
	v_fma_f32 v49, -v2, v48, v13
	v_fmac_f32_e32 v48, v49, v9
	v_fma_f32 v2, -v2, v48, v13
	v_div_fmas_f32 v2, v2, v9, v48
	v_div_fixup_f32 v1, v2, v39, v1
	v_ceil_f32_e32 v1, v1
	v_cvt_f16_f32_e32 v1, v1
	v_add_co_u32_e32 v10, vcc, s8, v10
	v_addc_co_u32_e32 v11, vcc, v11, v12, vcc
	global_store_short v[10:11], v1, off
.LBB30_12:                              ;   in Loop: Header=BB30_8 Depth=1
	s_or_b64 exec, exec, s[6:7]
	v_mov_b32_e32 v1, s14
	v_add_co_u32_e32 v10, vcc, s12, v16
	v_addc_co_u32_e32 v11, vcc, v1, v17, vcc
	v_cmp_gt_i64_e32 vcc, s[0:1], v[10:11]
	s_and_saveexec_b64 s[6:7], vcc
	s_cbranch_execz .LBB30_14
; %bb.13:                               ;   in Loop: Header=BB30_8 Depth=1
	v_cvt_f32_u32_e32 v1, v3
	v_mov_b32_e32 v2, 0x2f800000
	v_mov_b32_e32 v10, s9
	v_fmac_f32_e32 v2, 0x2f800000, v1
	v_cmp_gt_f32_e32 vcc, s21, v2
	v_cndmask_b32_e32 v1, 1.0, v44, vcc
	v_mul_f32_e32 v1, v2, v1
	v_log_f32_e32 v1, v1
	v_cndmask_b32_e32 v2, 0, v45, vcc
	v_mul_f32_e32 v3, 0x3f317217, v1
	v_fma_f32 v9, v1, s23, -v3
	v_fmac_f32_e32 v9, 0x3377d1cf, v1
	v_add_f32_e32 v3, v3, v9
	v_cmp_lt_f32_e64 vcc, |v1|, s24
	v_cndmask_b32_e32 v1, v1, v3, vcc
	v_sub_f32_e32 v1, v1, v2
	v_div_scale_f32 v2, s[10:11], v39, v39, v1
	v_rcp_f32_e32 v3, v2
	v_add_u32_e32 v9, s25, v43
	v_ashrrev_i32_e32 v11, 31, v9
	v_fma_f32 v12, -v2, v3, 1.0
	v_fmac_f32_e32 v3, v12, v3
	v_div_scale_f32 v12, vcc, v1, v39, v1
	v_mul_f32_e32 v13, v12, v3
	v_fma_f32 v48, -v2, v13, v12
	v_fmac_f32_e32 v13, v48, v3
	v_fma_f32 v2, -v2, v13, v12
	v_div_fmas_f32 v2, v2, v3, v13
	v_div_fixup_f32 v1, v2, v39, v1
	v_ceil_f32_e32 v1, v1
	v_cvt_f16_f32_e32 v1, v1
	v_add_co_u32_e32 v2, vcc, s8, v9
	v_addc_co_u32_e32 v3, vcc, v10, v11, vcc
	global_store_short v[2:3], v1, off
.LBB30_14:                              ;   in Loop: Header=BB30_8 Depth=1
	s_or_b64 exec, exec, s[6:7]
	v_mov_b32_e32 v1, s18
	v_add_co_u32_e32 v2, vcc, s17, v16
	v_addc_co_u32_e32 v3, vcc, v1, v17, vcc
	v_cmp_gt_i64_e32 vcc, s[0:1], v[2:3]
	s_and_saveexec_b64 s[6:7], vcc
	s_cbranch_execz .LBB30_16
; %bb.15:                               ;   in Loop: Header=BB30_8 Depth=1
	v_cvt_f32_u32_e32 v1, v4
	v_mov_b32_e32 v2, 0x2f800000
	v_mov_b32_e32 v9, s9
	v_fmac_f32_e32 v2, 0x2f800000, v1
	v_cmp_gt_f32_e32 vcc, s21, v2
	v_cndmask_b32_e32 v1, 1.0, v44, vcc
	v_mul_f32_e32 v1, v2, v1
	v_log_f32_e32 v1, v1
	v_cndmask_b32_e32 v2, 0, v45, vcc
	v_mul_f32_e32 v3, 0x3f317217, v1
	v_fma_f32 v4, v1, s23, -v3
	v_fmac_f32_e32 v4, 0x3377d1cf, v1
	v_add_f32_e32 v3, v3, v4
	v_cmp_lt_f32_e64 vcc, |v1|, s24
	v_cndmask_b32_e32 v1, v1, v3, vcc
	v_sub_f32_e32 v1, v1, v2
	v_div_scale_f32 v2, s[10:11], v39, v39, v1
	v_rcp_f32_e32 v3, v2
	v_add_u32_e32 v4, s25, v42
	v_ashrrev_i32_e32 v10, 31, v4
	v_fma_f32 v11, -v2, v3, 1.0
	v_fmac_f32_e32 v3, v11, v3
	v_div_scale_f32 v11, vcc, v1, v39, v1
	v_mul_f32_e32 v12, v11, v3
	v_fma_f32 v13, -v2, v12, v11
	v_fmac_f32_e32 v12, v13, v3
	v_fma_f32 v2, -v2, v12, v11
	v_div_fmas_f32 v2, v2, v3, v12
	v_div_fixup_f32 v1, v2, v39, v1
	v_ceil_f32_e32 v1, v1
	v_cvt_f16_f32_e32 v1, v1
	v_add_co_u32_e32 v2, vcc, s8, v4
	v_addc_co_u32_e32 v3, vcc, v9, v10, vcc
	global_store_short v[2:3], v1, off
.LBB30_16:                              ;   in Loop: Header=BB30_8 Depth=1
	s_or_b64 exec, exec, s[6:7]
	v_mov_b32_e32 v1, s20
	v_add_co_u32_e32 v2, vcc, s19, v16
	v_addc_co_u32_e32 v3, vcc, v1, v17, vcc
	v_cmp_gt_i64_e32 vcc, s[0:1], v[2:3]
	s_and_saveexec_b64 s[6:7], vcc
	s_cbranch_execz .LBB30_7
; %bb.17:                               ;   in Loop: Header=BB30_8 Depth=1
	v_cvt_f32_u32_e32 v1, v5
	v_mov_b32_e32 v2, 0x2f800000
	v_mov_b32_e32 v5, s9
	v_fmac_f32_e32 v2, 0x2f800000, v1
	v_cmp_gt_f32_e32 vcc, s21, v2
	v_cndmask_b32_e32 v1, 1.0, v44, vcc
	v_mul_f32_e32 v1, v2, v1
	v_log_f32_e32 v1, v1
	v_cndmask_b32_e32 v2, 0, v45, vcc
	v_mul_f32_e32 v3, 0x3f317217, v1
	v_fma_f32 v4, v1, s23, -v3
	v_fmac_f32_e32 v4, 0x3377d1cf, v1
	v_add_f32_e32 v3, v3, v4
	v_cmp_lt_f32_e64 vcc, |v1|, s24
	v_cndmask_b32_e32 v1, v1, v3, vcc
	v_sub_f32_e32 v1, v1, v2
	v_div_scale_f32 v2, s[10:11], v39, v39, v1
	v_rcp_f32_e32 v3, v2
	v_add_u32_e32 v4, s25, v41
	v_ashrrev_i32_e32 v9, 31, v4
	v_fma_f32 v10, -v2, v3, 1.0
	v_fmac_f32_e32 v3, v10, v3
	v_div_scale_f32 v10, vcc, v1, v39, v1
	v_mul_f32_e32 v11, v10, v3
	v_fma_f32 v12, -v2, v11, v10
	v_fmac_f32_e32 v11, v12, v3
	v_fma_f32 v2, -v2, v11, v10
	v_div_fmas_f32 v2, v2, v3, v11
	v_div_fixup_f32 v1, v2, v39, v1
	v_ceil_f32_e32 v1, v1
	v_cvt_f16_f32_e32 v1, v1
	v_add_co_u32_e32 v2, vcc, s8, v4
	v_addc_co_u32_e32 v3, vcc, v5, v9, vcc
	global_store_short v[2:3], v1, off
	s_branch .LBB30_7
.LBB30_18:                              ;   in Loop: Header=BB30_8 Depth=1
	v_cmp_lt_i32_e32 vcc, 2, v18
	s_and_saveexec_b64 s[10:11], vcc
	s_xor_b64 s[10:11], exec, s[10:11]
; %bb.19:                               ;   in Loop: Header=BB30_8 Depth=1
	v_mov_b32_e32 v10, v5
	v_mov_b32_e32 v11, v6
	v_pk_mov_b32 v[2:3], v[10:11], v[10:11] op_sel:[0,1]
	v_pk_mov_b32 v[4:5], v[12:13], v[12:13] op_sel:[0,1]
                                        ; implicit-def: $vgpr12_vgpr13
; %bb.20:                               ;   in Loop: Header=BB30_8 Depth=1
	s_andn2_saveexec_b64 s[10:11], s[10:11]
; %bb.21:                               ;   in Loop: Header=BB30_8 Depth=1
	v_mov_b32_e32 v2, v4
	v_mov_b32_e32 v3, v5
	;; [unrolled: 1-line block ×4, first 2 shown]
; %bb.22:                               ;   in Loop: Header=BB30_8 Depth=1
	s_or_b64 exec, exec, s[10:11]
	s_andn2_saveexec_b64 s[6:7], s[6:7]
	s_cbranch_execz .LBB30_10
.LBB30_23:                              ;   in Loop: Header=BB30_8 Depth=1
	v_cmp_eq_u32_e32 vcc, 1, v18
	s_and_saveexec_b64 s[10:11], vcc
; %bb.24:                               ;   in Loop: Header=BB30_8 Depth=1
	v_mov_b32_e32 v2, v3
	v_mov_b32_e32 v3, v4
	;; [unrolled: 1-line block ×4, first 2 shown]
; %bb.25:                               ;   in Loop: Header=BB30_8 Depth=1
	s_or_b64 exec, exec, s[10:11]
	s_or_b64 exec, exec, s[6:7]
	v_cmp_gt_i64_e32 vcc, s[0:1], v[16:17]
	s_and_saveexec_b64 s[6:7], vcc
	s_cbranch_execnz .LBB30_11
	s_branch .LBB30_12
.LBB30_26:
	s_endpgm
.LBB30_27:
                                        ; implicit-def: $sgpr8_sgpr9
	s_andn2_b64 vcc, exec, s[2:3]
	s_cbranch_vccz .LBB30_4
	s_branch .LBB30_5
	.section	.rodata,"a",@progbits
	.p2align	6, 0x0
	.amdhsa_kernel _ZN2at6native12_GLOBAL__N_143distribution_elementwise_grid_stride_kernelIfLi4EZNS0_9templates4cuda21uniform_and_transformIN3c104HalfEfPNS_17CUDAGeneratorImplEZZZNS4_16geometric_kernelIS9_EEvRNS_18TensorIteratorBaseEdT_ENKUlvE_clEvENKUlvE6_clEvEUlfE_EEvSC_T1_T2_EUlP25hiprandStatePhilox4_32_10E0_ZNS1_27distribution_nullary_kernelIS7_f15HIP_vector_typeIfLj4EES9_SL_SG_EEvSC_SI_RKT3_T4_EUlifE_EEvlNS_15PhiloxCudaStateESH_SI_
		.amdhsa_group_segment_fixed_size 0
		.amdhsa_private_segment_fixed_size 0
		.amdhsa_kernarg_size 328
		.amdhsa_user_sgpr_count 6
		.amdhsa_user_sgpr_private_segment_buffer 1
		.amdhsa_user_sgpr_dispatch_ptr 0
		.amdhsa_user_sgpr_queue_ptr 0
		.amdhsa_user_sgpr_kernarg_segment_ptr 1
		.amdhsa_user_sgpr_dispatch_id 0
		.amdhsa_user_sgpr_flat_scratch_init 0
		.amdhsa_user_sgpr_kernarg_preload_length 0
		.amdhsa_user_sgpr_kernarg_preload_offset 0
		.amdhsa_user_sgpr_private_segment_size 0
		.amdhsa_uses_dynamic_stack 0
		.amdhsa_system_sgpr_private_segment_wavefront_offset 0
		.amdhsa_system_sgpr_workgroup_id_x 1
		.amdhsa_system_sgpr_workgroup_id_y 0
		.amdhsa_system_sgpr_workgroup_id_z 0
		.amdhsa_system_sgpr_workgroup_info 0
		.amdhsa_system_vgpr_workitem_id 0
		.amdhsa_next_free_vgpr 50
		.amdhsa_next_free_sgpr 26
		.amdhsa_accum_offset 52
		.amdhsa_reserve_vcc 1
		.amdhsa_reserve_flat_scratch 0
		.amdhsa_float_round_mode_32 0
		.amdhsa_float_round_mode_16_64 0
		.amdhsa_float_denorm_mode_32 3
		.amdhsa_float_denorm_mode_16_64 3
		.amdhsa_dx10_clamp 1
		.amdhsa_ieee_mode 1
		.amdhsa_fp16_overflow 0
		.amdhsa_tg_split 0
		.amdhsa_exception_fp_ieee_invalid_op 0
		.amdhsa_exception_fp_denorm_src 0
		.amdhsa_exception_fp_ieee_div_zero 0
		.amdhsa_exception_fp_ieee_overflow 0
		.amdhsa_exception_fp_ieee_underflow 0
		.amdhsa_exception_fp_ieee_inexact 0
		.amdhsa_exception_int_div_zero 0
	.end_amdhsa_kernel
	.section	.text._ZN2at6native12_GLOBAL__N_143distribution_elementwise_grid_stride_kernelIfLi4EZNS0_9templates4cuda21uniform_and_transformIN3c104HalfEfPNS_17CUDAGeneratorImplEZZZNS4_16geometric_kernelIS9_EEvRNS_18TensorIteratorBaseEdT_ENKUlvE_clEvENKUlvE6_clEvEUlfE_EEvSC_T1_T2_EUlP25hiprandStatePhilox4_32_10E0_ZNS1_27distribution_nullary_kernelIS7_f15HIP_vector_typeIfLj4EES9_SL_SG_EEvSC_SI_RKT3_T4_EUlifE_EEvlNS_15PhiloxCudaStateESH_SI_,"axG",@progbits,_ZN2at6native12_GLOBAL__N_143distribution_elementwise_grid_stride_kernelIfLi4EZNS0_9templates4cuda21uniform_and_transformIN3c104HalfEfPNS_17CUDAGeneratorImplEZZZNS4_16geometric_kernelIS9_EEvRNS_18TensorIteratorBaseEdT_ENKUlvE_clEvENKUlvE6_clEvEUlfE_EEvSC_T1_T2_EUlP25hiprandStatePhilox4_32_10E0_ZNS1_27distribution_nullary_kernelIS7_f15HIP_vector_typeIfLj4EES9_SL_SG_EEvSC_SI_RKT3_T4_EUlifE_EEvlNS_15PhiloxCudaStateESH_SI_,comdat
.Lfunc_end30:
	.size	_ZN2at6native12_GLOBAL__N_143distribution_elementwise_grid_stride_kernelIfLi4EZNS0_9templates4cuda21uniform_and_transformIN3c104HalfEfPNS_17CUDAGeneratorImplEZZZNS4_16geometric_kernelIS9_EEvRNS_18TensorIteratorBaseEdT_ENKUlvE_clEvENKUlvE6_clEvEUlfE_EEvSC_T1_T2_EUlP25hiprandStatePhilox4_32_10E0_ZNS1_27distribution_nullary_kernelIS7_f15HIP_vector_typeIfLj4EES9_SL_SG_EEvSC_SI_RKT3_T4_EUlifE_EEvlNS_15PhiloxCudaStateESH_SI_, .Lfunc_end30-_ZN2at6native12_GLOBAL__N_143distribution_elementwise_grid_stride_kernelIfLi4EZNS0_9templates4cuda21uniform_and_transformIN3c104HalfEfPNS_17CUDAGeneratorImplEZZZNS4_16geometric_kernelIS9_EEvRNS_18TensorIteratorBaseEdT_ENKUlvE_clEvENKUlvE6_clEvEUlfE_EEvSC_T1_T2_EUlP25hiprandStatePhilox4_32_10E0_ZNS1_27distribution_nullary_kernelIS7_f15HIP_vector_typeIfLj4EES9_SL_SG_EEvSC_SI_RKT3_T4_EUlifE_EEvlNS_15PhiloxCudaStateESH_SI_
                                        ; -- End function
	.section	.AMDGPU.csdata,"",@progbits
; Kernel info:
; codeLenInByte = 3612
; NumSgprs: 30
; NumVgprs: 50
; NumAgprs: 0
; TotalNumVgprs: 50
; ScratchSize: 0
; MemoryBound: 0
; FloatMode: 240
; IeeeMode: 1
; LDSByteSize: 0 bytes/workgroup (compile time only)
; SGPRBlocks: 3
; VGPRBlocks: 6
; NumSGPRsForWavesPerEU: 30
; NumVGPRsForWavesPerEU: 50
; AccumOffset: 52
; Occupancy: 8
; WaveLimiterHint : 0
; COMPUTE_PGM_RSRC2:SCRATCH_EN: 0
; COMPUTE_PGM_RSRC2:USER_SGPR: 6
; COMPUTE_PGM_RSRC2:TRAP_HANDLER: 0
; COMPUTE_PGM_RSRC2:TGID_X_EN: 1
; COMPUTE_PGM_RSRC2:TGID_Y_EN: 0
; COMPUTE_PGM_RSRC2:TGID_Z_EN: 0
; COMPUTE_PGM_RSRC2:TIDIG_COMP_CNT: 0
; COMPUTE_PGM_RSRC3_GFX90A:ACCUM_OFFSET: 12
; COMPUTE_PGM_RSRC3_GFX90A:TG_SPLIT: 0
	.section	.text._ZN2at6native12_GLOBAL__N_143distribution_elementwise_grid_stride_kernelIfLi4EZNS0_9templates4cuda21uniform_and_transformIN3c104HalfEfPNS_17CUDAGeneratorImplEZZZNS4_16geometric_kernelIS9_EEvRNS_18TensorIteratorBaseEdT_ENKUlvE_clEvENKUlvE6_clEvEUlfE_EEvSC_T1_T2_EUlP25hiprandStatePhilox4_32_10E0_ZNS1_27distribution_nullary_kernelIS7_f15HIP_vector_typeIfLj4EES9_SL_SG_EEvSC_SI_RKT3_T4_EUlifE0_EEvlNS_15PhiloxCudaStateESH_SI_,"axG",@progbits,_ZN2at6native12_GLOBAL__N_143distribution_elementwise_grid_stride_kernelIfLi4EZNS0_9templates4cuda21uniform_and_transformIN3c104HalfEfPNS_17CUDAGeneratorImplEZZZNS4_16geometric_kernelIS9_EEvRNS_18TensorIteratorBaseEdT_ENKUlvE_clEvENKUlvE6_clEvEUlfE_EEvSC_T1_T2_EUlP25hiprandStatePhilox4_32_10E0_ZNS1_27distribution_nullary_kernelIS7_f15HIP_vector_typeIfLj4EES9_SL_SG_EEvSC_SI_RKT3_T4_EUlifE0_EEvlNS_15PhiloxCudaStateESH_SI_,comdat
	.globl	_ZN2at6native12_GLOBAL__N_143distribution_elementwise_grid_stride_kernelIfLi4EZNS0_9templates4cuda21uniform_and_transformIN3c104HalfEfPNS_17CUDAGeneratorImplEZZZNS4_16geometric_kernelIS9_EEvRNS_18TensorIteratorBaseEdT_ENKUlvE_clEvENKUlvE6_clEvEUlfE_EEvSC_T1_T2_EUlP25hiprandStatePhilox4_32_10E0_ZNS1_27distribution_nullary_kernelIS7_f15HIP_vector_typeIfLj4EES9_SL_SG_EEvSC_SI_RKT3_T4_EUlifE0_EEvlNS_15PhiloxCudaStateESH_SI_ ; -- Begin function _ZN2at6native12_GLOBAL__N_143distribution_elementwise_grid_stride_kernelIfLi4EZNS0_9templates4cuda21uniform_and_transformIN3c104HalfEfPNS_17CUDAGeneratorImplEZZZNS4_16geometric_kernelIS9_EEvRNS_18TensorIteratorBaseEdT_ENKUlvE_clEvENKUlvE6_clEvEUlfE_EEvSC_T1_T2_EUlP25hiprandStatePhilox4_32_10E0_ZNS1_27distribution_nullary_kernelIS7_f15HIP_vector_typeIfLj4EES9_SL_SG_EEvSC_SI_RKT3_T4_EUlifE0_EEvlNS_15PhiloxCudaStateESH_SI_
	.p2align	8
	.type	_ZN2at6native12_GLOBAL__N_143distribution_elementwise_grid_stride_kernelIfLi4EZNS0_9templates4cuda21uniform_and_transformIN3c104HalfEfPNS_17CUDAGeneratorImplEZZZNS4_16geometric_kernelIS9_EEvRNS_18TensorIteratorBaseEdT_ENKUlvE_clEvENKUlvE6_clEvEUlfE_EEvSC_T1_T2_EUlP25hiprandStatePhilox4_32_10E0_ZNS1_27distribution_nullary_kernelIS7_f15HIP_vector_typeIfLj4EES9_SL_SG_EEvSC_SI_RKT3_T4_EUlifE0_EEvlNS_15PhiloxCudaStateESH_SI_,@function
_ZN2at6native12_GLOBAL__N_143distribution_elementwise_grid_stride_kernelIfLi4EZNS0_9templates4cuda21uniform_and_transformIN3c104HalfEfPNS_17CUDAGeneratorImplEZZZNS4_16geometric_kernelIS9_EEvRNS_18TensorIteratorBaseEdT_ENKUlvE_clEvENKUlvE6_clEvEUlfE_EEvSC_T1_T2_EUlP25hiprandStatePhilox4_32_10E0_ZNS1_27distribution_nullary_kernelIS7_f15HIP_vector_typeIfLj4EES9_SL_SG_EEvSC_SI_RKT3_T4_EUlifE0_EEvlNS_15PhiloxCudaStateESH_SI_: ; @_ZN2at6native12_GLOBAL__N_143distribution_elementwise_grid_stride_kernelIfLi4EZNS0_9templates4cuda21uniform_and_transformIN3c104HalfEfPNS_17CUDAGeneratorImplEZZZNS4_16geometric_kernelIS9_EEvRNS_18TensorIteratorBaseEdT_ENKUlvE_clEvENKUlvE6_clEvEUlfE_EEvSC_T1_T2_EUlP25hiprandStatePhilox4_32_10E0_ZNS1_27distribution_nullary_kernelIS7_f15HIP_vector_typeIfLj4EES9_SL_SG_EEvSC_SI_RKT3_T4_EUlifE0_EEvlNS_15PhiloxCudaStateESH_SI_
; %bb.0:
	s_load_dword s2, s[4:5], 0x20
	s_load_dwordx2 s[0:1], s[4:5], 0x10
	s_load_dwordx4 s[24:27], s[4:5], 0x0
	s_waitcnt lgkmcnt(0)
	s_bitcmp0_b32 s2, 0
	s_mov_b32 s2, 0
	v_pk_mov_b32 v[2:3], s[0:1], s[0:1] op_sel:[0,1]
	v_pk_mov_b32 v[12:13], s[26:27], s[26:27] op_sel:[0,1]
	s_cbranch_scc1 .LBB31_2
; %bb.1:
	v_pk_mov_b32 v[2:3], s[0:1], s[0:1] op_sel:[0,1]
	flat_load_dwordx2 v[2:3], v[2:3]
	v_pk_mov_b32 v[4:5], s[26:27], s[26:27] op_sel:[0,1]
	flat_load_dwordx2 v[12:13], v[4:5]
	s_load_dwordx2 s[0:1], s[4:5], 0x18
	s_waitcnt lgkmcnt(0)
	v_mov_b32_e32 v1, s1
	s_waitcnt vmcnt(0)
	v_add_co_u32_e32 v2, vcc, s0, v2
	v_addc_co_u32_e32 v3, vcc, v3, v1, vcc
.LBB31_2:
	s_load_dword s0, s[4:5], 0x154
	s_load_dword s7, s[4:5], 0x148
	s_waitcnt lgkmcnt(0)
	s_and_b32 s8, s0, 0xffff
	s_add_u32 s9, s24, -1
	s_mul_i32 s33, s7, s8
	s_addc_u32 s3, s25, -1
	s_lshl_b32 s58, s33, 2
	s_cmp_lg_u64 s[2:3], 0
	s_mov_b64 s[0:1], -1
	s_cbranch_scc0 .LBB31_83
; %bb.3:
	v_cvt_f32_u32_e32 v1, s58
	v_cvt_f32_ubyte0_e32 v4, 0
	s_sub_u32 s2, 0, s58
	s_subb_u32 s10, 0, 0
	v_madmk_f32 v1, v4, 0x4f800000, v1
	v_rcp_f32_e32 v1, v1
	v_mul_f32_e32 v1, 0x5f7ffffc, v1
	v_mul_f32_e32 v4, 0x2f800000, v1
	v_trunc_f32_e32 v4, v4
	v_madmk_f32 v1, v4, 0xcf800000, v1
	v_cvt_u32_f32_e32 v4, v4
	v_cvt_u32_f32_e32 v1, v1
	v_readfirstlane_b32 s11, v4
	v_readfirstlane_b32 s12, v1
	s_mul_i32 s13, s2, s11
	s_mul_hi_u32 s15, s2, s12
	s_mul_i32 s14, s10, s12
	s_add_i32 s13, s15, s13
	s_add_i32 s13, s13, s14
	s_mul_i32 s16, s2, s12
	s_mul_hi_u32 s14, s12, s13
	s_mul_i32 s15, s12, s13
	s_mul_hi_u32 s12, s12, s16
	s_add_u32 s12, s12, s15
	s_addc_u32 s14, 0, s14
	s_mul_hi_u32 s17, s11, s16
	s_mul_i32 s16, s11, s16
	s_add_u32 s12, s12, s16
	s_mul_hi_u32 s15, s11, s13
	s_addc_u32 s12, s14, s17
	s_addc_u32 s14, s15, 0
	s_mul_i32 s13, s11, s13
	s_add_u32 s12, s12, s13
	s_addc_u32 s13, 0, s14
	v_add_co_u32_e32 v1, vcc, s12, v1
	s_cmp_lg_u64 vcc, 0
	s_addc_u32 s11, s11, s13
	v_readfirstlane_b32 s13, v1
	s_mul_i32 s12, s2, s11
	s_mul_hi_u32 s14, s2, s13
	s_add_i32 s12, s14, s12
	s_mul_i32 s10, s10, s13
	s_add_i32 s12, s12, s10
	s_mul_i32 s2, s2, s13
	s_mul_hi_u32 s14, s11, s2
	s_mul_i32 s15, s11, s2
	s_mul_i32 s17, s13, s12
	s_mul_hi_u32 s2, s13, s2
	s_mul_hi_u32 s16, s13, s12
	s_add_u32 s2, s2, s17
	s_addc_u32 s13, 0, s16
	s_add_u32 s2, s2, s15
	s_mul_hi_u32 s10, s11, s12
	s_addc_u32 s2, s13, s14
	s_addc_u32 s10, s10, 0
	s_mul_i32 s12, s11, s12
	s_add_u32 s2, s2, s12
	s_addc_u32 s10, 0, s10
	v_add_co_u32_e32 v1, vcc, s2, v1
	s_cmp_lg_u64 vcc, 0
	s_addc_u32 s12, s11, s10
	s_ashr_i32 s10, s3, 31
	s_add_u32 s2, s9, s10
	s_mov_b32 s11, s10
	s_addc_u32 s3, s3, s10
	s_xor_b64 s[2:3], s[2:3], s[10:11]
	v_readfirstlane_b32 s15, v1
	s_mul_i32 s14, s2, s12
	s_mul_hi_u32 s16, s2, s15
	s_mul_hi_u32 s13, s2, s12
	s_add_u32 s14, s16, s14
	s_addc_u32 s13, 0, s13
	s_mul_hi_u32 s17, s3, s15
	s_mul_i32 s15, s3, s15
	s_add_u32 s14, s14, s15
	s_mul_hi_u32 s16, s3, s12
	s_addc_u32 s13, s13, s17
	s_addc_u32 s14, s16, 0
	s_mul_i32 s12, s3, s12
	s_add_u32 s12, s13, s12
	s_addc_u32 s13, 0, s14
	s_add_u32 s14, s12, 1
	s_addc_u32 s15, s13, 0
	s_add_u32 s16, s12, 2
	s_mul_i32 s18, s58, s13
	s_mul_hi_u32 s19, s58, s12
	s_addc_u32 s17, s13, 0
	s_add_i32 s19, s19, s18
	s_mul_i32 s18, s58, s12
	v_mov_b32_e32 v1, s18
	v_sub_co_u32_e32 v1, vcc, s2, v1
	s_cmp_lg_u64 vcc, 0
	s_subb_u32 s2, s3, s19
	v_subrev_co_u32_e32 v4, vcc, s58, v1
	s_cmp_lg_u64 vcc, 0
	s_subb_u32 s3, s2, 0
	v_readfirstlane_b32 s18, v4
	s_cmp_ge_u32 s18, s58
	s_cselect_b32 s18, -1, 0
	s_cmp_eq_u32 s3, 0
	s_cselect_b32 s3, s18, -1
	s_cmp_lg_u32 s3, 0
	s_cselect_b32 s3, s17, s15
	v_readfirstlane_b32 s15, v1
	s_cselect_b32 s14, s16, s14
	s_cmp_ge_u32 s15, s58
	s_cselect_b32 s15, -1, 0
	s_cmp_eq_u32 s2, 0
	s_cselect_b32 s2, s15, -1
	s_cmp_lg_u32 s2, 0
	s_cselect_b32 s3, s3, s13
	s_cselect_b32 s2, s14, s12
	s_xor_b64 s[2:3], s[2:3], s[10:11]
	s_sub_u32 s2, s2, s10
	s_subb_u32 s3, s3, s10
	s_cbranch_execnz .LBB31_5
.LBB31_4:
	v_cvt_f32_u32_e32 v1, s58
	s_sub_i32 s0, 0, s58
	s_mov_b32 s3, 0
	v_rcp_iflag_f32_e32 v1, v1
	v_mul_f32_e32 v1, 0x4f7ffffe, v1
	v_cvt_u32_f32_e32 v1, v1
	v_readfirstlane_b32 s1, v1
	s_mul_i32 s0, s0, s1
	s_mul_hi_u32 s0, s1, s0
	s_add_i32 s1, s1, s0
	s_mul_hi_u32 s0, s9, s1
	s_mul_i32 s2, s0, s58
	s_sub_i32 s2, s9, s2
	s_add_i32 s1, s0, 1
	s_sub_i32 s9, s2, s58
	s_cmp_ge_u32 s2, s58
	s_cselect_b32 s0, s1, s0
	s_cselect_b32 s2, s9, s2
	s_add_i32 s1, s0, 1
	s_cmp_ge_u32 s2, s58
	s_cselect_b32 s2, s1, s0
.LBB31_5:
	v_mov_b32_e32 v1, 0
	v_mov_b32_e32 v4, s6
	v_mad_u64_u32 v[14:15], s[0:1], s8, v4, v[0:1]
	s_add_u32 s0, s2, 1
	s_addc_u32 s1, s3, 0
	s_mul_hi_u32 s2, s7, s8
	s_mul_i32 s1, s33, s1
	s_mul_hi_u32 s3, s33, s0
	s_add_i32 s1, s3, s1
	s_mul_i32 s2, s2, s0
	s_add_i32 s1, s1, s2
	s_mul_i32 s0, s33, s0
	s_lshl_b64 s[26:27], s[0:1], 2
	v_cmp_gt_i64_e32 vcc, s[26:27], v[14:15]
	s_and_saveexec_b64 s[0:1], vcc
	s_cbranch_execz .LBB31_82
; %bb.6:
	s_mov_b32 s0, 0x5384540f
	v_mov_b32_e32 v0, v13
	v_add_co_u32_e32 v22, vcc, s0, v12
	s_mov_b32 s0, 0x646e171e
	v_add_co_u32_e32 v23, vcc, s0, v0
	s_mov_b32 s0, 0x1715609d
	v_add_co_u32_e32 v24, vcc, s0, v12
	s_mov_b32 s0, 0xed9eba14
	v_add_co_u32_e32 v25, vcc, s0, v0
	s_mov_b32 s0, 0xdaa66d2b
	v_add_co_u32_e32 v26, vcc, s0, v12
	s_mov_b32 s0, 0x76cf5d0a
	v_add_co_u32_e32 v27, vcc, s0, v0
	s_mov_b32 s0, 0x9e3779b9
	v_alignbit_b32 v29, v3, v2, 2
	s_mov_b32 s60, 0xd2511f53
	v_add_co_u32_e32 v28, vcc, s0, v12
	v_mad_u64_u32 v[4:5], s[0:1], v29, s60, 0
	v_xor_b32_e32 v1, v5, v13
	v_xor_b32_e32 v1, v1, v15
	s_mov_b32 s61, 0xcd9e8d57
	v_mad_u64_u32 v[6:7], s[0:1], v1, s61, 0
	v_xor_b32_e32 v1, v28, v7
	v_mad_u64_u32 v[8:9], s[0:1], v14, s61, 0
	v_and_b32_e32 v18, 3, v2
	v_xor_b32_e32 v1, v1, v8
	v_xor_b32_e32 v2, v12, v9
	v_lshrrev_b32_e32 v30, 2, v3
	v_mad_u64_u32 v[10:11], s[0:1], v1, s60, 0
	v_xor_b32_e32 v2, v2, v30
	v_xor_b32_e32 v1, v27, v11
	v_mad_u64_u32 v[2:3], s[0:1], v2, s60, 0
	v_xor_b32_e32 v1, v1, v2
	v_mad_u64_u32 v[8:9], s[0:1], v1, s61, 0
	s_mov_b32 s0, 0xbb67ae85
	v_add_co_u32_e32 v31, vcc, s0, v0
	v_xor_b32_e32 v2, v31, v3
	v_xor_b32_e32 v2, v2, v4
	v_xor_b32_e32 v1, v26, v9
	v_mad_u64_u32 v[2:3], s[0:1], v2, s61, 0
	v_xor_b32_e32 v1, v1, v2
	v_mad_u64_u32 v[4:5], s[0:1], v1, s60, 0
	s_mov_b32 s0, 0x3c6ef372
	v_add_co_u32_e32 v32, vcc, s0, v12
	v_xor_b32_e32 v2, v32, v3
	;; [unrolled: 8-line block ×6, first 2 shown]
	v_add_co_u32_e32 v21, vcc, 0xdb3d7428, v0
	v_xor_b32_e32 v2, v2, v6
	v_xor_b32_e32 v1, v21, v5
	v_mad_u64_u32 v[2:3], s[0:1], v2, s60, 0
	v_xor_b32_e32 v1, v1, v2
	v_mad_u64_u32 v[6:7], s[0:1], v1, s61, 0
	s_mov_b32 s0, 0x1fd5c5a3
	v_add_co_u32_e32 v37, vcc, s0, v0
	v_xor_b32_e32 v0, v37, v3
	v_xor_b32_e32 v0, v0, v10
	v_mad_u64_u32 v[0:1], s[0:1], v0, s61, 0
	s_mov_b32 s0, 0xf1bbcdc8
	v_add_co_u32_e32 v38, vcc, s0, v12
	s_load_dwordx2 s[46:47], s[4:5], 0xf4
	s_load_dwordx4 s[28:31], s[4:5], 0x138
	v_xor_b32_e32 v1, v38, v1
	v_xor_b32_e32 v1, v1, v8
	v_mad_u64_u32 v[8:9], s[0:1], v1, s60, 0
	v_add_u32_e32 v20, 0x96a522ad, v13
	v_xor_b32_e32 v1, v9, v4
	v_xor_b32_e32 v2, v20, v1
	v_mov_b32_e32 v1, v6
	s_waitcnt lgkmcnt(0)
	v_cvt_f32_f64_e32 v6, s[30:31]
	v_xor_b32_e32 v0, v7, v0
	v_sub_f32_e32 v7, 1.0, v6
	v_add_f32_e32 v4, -1.0, v7
	v_sub_f32_e32 v5, v4, v7
	v_add_f32_e32 v5, 1.0, v5
	v_sub_f32_e64 v4, -v6, v4
	v_mov_b32_e32 v3, v8
	v_add_f32_e32 v8, v4, v5
	v_frexp_mant_f32_e32 v9, v7
	s_mov_b32 s0, 0x3f2aaaab
	v_cvt_f64_f32_e32 v[4:5], v7
	v_frexp_exp_i32_f64_e32 v4, v[4:5]
	v_cmp_gt_f32_e32 vcc, s0, v9
	v_subbrev_co_u32_e32 v4, vcc, 0, v4, vcc
	v_sub_u32_e32 v5, 0, v4
	v_ldexp_f32 v7, v7, v5
	v_ldexp_f32 v5, v8, v5
	v_add_f32_e32 v8, -1.0, v7
	v_add_f32_e32 v11, 1.0, v7
	v_add_f32_e32 v9, 1.0, v8
	v_add_f32_e32 v16, -1.0, v11
	v_sub_f32_e32 v9, v7, v9
	v_sub_f32_e32 v7, v7, v16
	v_add_f32_e32 v9, v5, v9
	v_add_f32_e32 v5, v5, v7
	v_add_f32_e32 v7, v11, v5
	v_rcp_f32_e32 v16, v7
	v_add_f32_e32 v10, v8, v9
	v_sub_f32_e32 v8, v10, v8
	v_sub_f32_e32 v8, v9, v8
	;; [unrolled: 1-line block ×4, first 2 shown]
	v_mul_f32_e32 v9, v10, v16
	v_mul_f32_e32 v11, v7, v9
	v_fma_f32 v17, v9, v7, -v11
	v_fmac_f32_e32 v17, v9, v5
	v_add_f32_e32 v39, v11, v17
	v_sub_f32_e32 v40, v10, v39
	v_sub_f32_e32 v10, v10, v40
	;; [unrolled: 1-line block ×4, first 2 shown]
	v_add_f32_e32 v8, v8, v10
	v_sub_f32_e32 v10, v11, v17
	v_add_f32_e32 v8, v10, v8
	v_add_f32_e32 v10, v40, v8
	v_mul_f32_e32 v11, v16, v10
	v_mul_f32_e32 v17, v7, v11
	v_fma_f32 v7, v11, v7, -v17
	v_fmac_f32_e32 v7, v11, v5
	v_sub_f32_e32 v5, v40, v10
	v_add_f32_e32 v5, v8, v5
	v_add_f32_e32 v8, v17, v7
	v_sub_f32_e32 v39, v10, v8
	v_sub_f32_e32 v10, v10, v39
	;; [unrolled: 1-line block ×4, first 2 shown]
	v_add_f32_e32 v5, v5, v8
	v_sub_f32_e32 v7, v17, v7
	v_add_f32_e32 v5, v7, v5
	v_add_f32_e32 v7, v9, v11
	;; [unrolled: 1-line block ×3, first 2 shown]
	v_sub_f32_e32 v8, v7, v9
	v_mul_f32_e32 v5, v16, v5
	v_sub_f32_e32 v8, v11, v8
	v_add_f32_e32 v5, v8, v5
	v_cvt_f32_i32_e32 v4, v4
	v_add_f32_e32 v8, v7, v5
	v_mul_f32_e32 v9, v8, v8
	v_mov_b32_e32 v10, 0x3ecc95a3
	v_fmac_f32_e32 v10, 0x3e9b6dac, v9
	v_mov_b32_e32 v11, 0x3f2aaada
	v_fmac_f32_e32 v11, v9, v10
	s_mov_b32 s0, 0x3f317218
	v_mul_f32_e32 v10, 0x3f317218, v4
	v_fma_f32 v16, v4, s0, -v10
	v_fmac_f32_e32 v16, 0xb102e308, v4
	v_sub_f32_e32 v4, v8, v7
	v_sub_f32_e32 v4, v5, v4
	v_add_f32_e32 v5, v10, v16
	v_sub_f32_e32 v7, v5, v10
	v_ldexp_f32 v10, v8, 1
	v_mul_f32_e32 v8, v8, v9
	v_mul_f32_e32 v8, v8, v11
	v_add_f32_e32 v9, v10, v8
	v_sub_f32_e32 v10, v9, v10
	v_ldexp_f32 v4, v4, 1
	v_sub_f32_e32 v8, v8, v10
	v_add_f32_e32 v4, v4, v8
	v_add_f32_e32 v8, v9, v4
	v_sub_f32_e32 v9, v8, v9
	s_load_dwordx8 s[8:15], s[4:5], 0x30
	v_sub_f32_e32 v4, v4, v9
	v_add_f32_e32 v9, v5, v8
	v_sub_f32_e32 v10, v9, v5
	v_sub_f32_e32 v11, v9, v10
	v_sub_f32_e32 v7, v16, v7
	v_sub_f32_e32 v5, v5, v11
	v_sub_f32_e32 v8, v8, v10
	s_add_u32 s34, s4, 48
	v_add_f32_e32 v5, v8, v5
	v_add_f32_e32 v8, v7, v4
	s_addc_u32 s35, s5, 0
	s_waitcnt lgkmcnt(0)
	s_add_i32 s2, s8, -1
	v_sub_f32_e32 v10, v8, v7
	s_cmp_gt_u32 s2, 1
	v_sub_f32_e32 v11, v8, v10
	s_cselect_b64 s[40:41], -1, 0
	s_cmp_lg_u32 s8, 0
	v_sub_f32_e32 v7, v7, v11
	v_sub_f32_e32 v4, v4, v10
	v_add_f32_e32 v5, v8, v5
	s_cselect_b64 s[42:43], -1, 0
	s_add_u32 s44, s4, 0xf4
	v_add_f32_e32 v4, v4, v7
	v_add_f32_e32 v7, v9, v5
	s_addc_u32 s45, s5, 0
	s_min_u32 s3, s2, 15
	v_sub_f32_e32 v8, v7, v9
	s_cmp_gt_u32 s8, 1
	v_sub_f32_e32 v5, v5, v8
	s_cselect_b64 s[48:49], -1, 0
	v_add_f32_e32 v4, v4, v5
	s_mov_b32 s0, 0xff800000
	s_add_i32 s3, s3, 1
	s_mov_b32 s8, s13
	v_add_f32_e32 v4, v7, v4
	v_cmp_eq_f32_e32 vcc, s0, v6
	s_lshl_b32 s13, s33, 1
	s_and_b32 s64, s3, 3
	v_cndmask_b32_e64 v4, v4, -v6, vcc
	v_mov_b32_e32 v5, 0x7fc00000
	v_cmp_nlt_f32_e32 vcc, 1.0, v6
	s_cmp_lg_u32 s2, 2
	v_cndmask_b32_e32 v4, v5, v4, vcc
	v_mov_b32_e32 v5, 0xff800000
	v_cmp_neq_f32_e32 vcc, 1.0, v6
	s_mov_b32 s0, 0x33800000
	s_cselect_b64 s[30:31], -1, 0
	s_and_b32 s65, s3, 28
	s_mov_b32 s59, 0
	v_add_u32_e32 v19, 0x8ff34781, v12
	v_cndmask_b32_e32 v4, v5, v4, vcc
	v_cmp_lt_f32_e64 s[0:1], |v6|, s0
	s_cmp_lg_u32 s64, 0
	v_xor_b32_e32 v0, v19, v0
	v_cndmask_b32_e64 v39, v4, -v6, s[0:1]
	s_mov_b32 s15, s59
	s_mul_i32 s62, s33, 3
	s_mov_b32 s63, s59
	s_mov_b64 s[50:51], 0
	s_cselect_b64 s[52:53], -1, 0
	s_mov_b32 s66, 0x800000
	s_mov_b32 s67, 0x3f317217
	;; [unrolled: 1-line block ×3, first 2 shown]
	v_mov_b32_e32 v40, 0x4f800000
	v_mov_b32_e32 v41, 0x41b17218
	;; [unrolled: 1-line block ×4, first 2 shown]
	s_branch .LBB31_9
.LBB31_7:                               ;   in Loop: Header=BB31_9 Depth=1
	v_cvt_f32_u32_e32 v1, v3
	v_mov_b32_e32 v2, 0x2f800000
	v_fmac_f32_e32 v2, 0x2f800000, v1
	v_cmp_gt_f32_e32 vcc, s66, v2
	v_cndmask_b32_e32 v1, 1.0, v40, vcc
	v_mul_f32_e32 v1, v2, v1
	v_log_f32_e32 v1, v1
	v_cndmask_b32_e32 v2, 0, v41, vcc
	v_mul_f32_e32 v3, 0x3f317217, v1
	v_fma_f32 v7, v1, s67, -v3
	v_fmac_f32_e32 v7, 0x3377d1cf, v1
	v_add_f32_e32 v3, v3, v7
	v_cmp_lt_f32_e64 vcc, |v1|, s68
	v_cndmask_b32_e32 v1, v1, v3, vcc
	v_sub_f32_e32 v1, v1, v2
	v_div_scale_f32 v2, s[0:1], v39, v39, v1
	v_rcp_f32_e32 v3, v2
	v_div_scale_f32 v7, vcc, v1, v39, v1
	v_fma_f32 v8, -v2, v3, 1.0
	v_fmac_f32_e32 v3, v8, v3
	v_mul_f32_e32 v8, v7, v3
	v_fma_f32 v9, -v2, v8, v7
	v_fmac_f32_e32 v8, v9, v3
	v_fma_f32 v2, -v2, v8, v7
	v_div_fmas_f32 v2, v2, v3, v8
	v_div_fixup_f32 v1, v2, v39, v1
	v_ceil_f32_e32 v1, v1
	v_cvt_f16_f32_e32 v1, v1
	global_store_short v0, v1, s[28:29]
.LBB31_8:                               ;   in Loop: Header=BB31_9 Depth=1
	s_or_b64 exec, exec, s[36:37]
	v_add_co_u32_e32 v14, vcc, s58, v14
	v_addc_co_u32_e32 v15, vcc, 0, v15, vcc
	v_mov_b32_e32 v7, v16
	v_cmp_le_i64_e32 vcc, s[26:27], v[14:15]
	v_pk_mov_b32 v[0:1], v[4:5], v[4:5] op_sel:[0,1]
	s_or_b64 s[50:51], vcc, s[50:51]
	v_pk_mov_b32 v[2:3], v[6:7], v[6:7] op_sel:[0,1]
	s_barrier
	s_andn2_b64 exec, exec, s[50:51]
	s_cbranch_execz .LBB31_82
.LBB31_9:                               ; =>This Loop Header: Depth=1
                                        ;     Child Loop BB31_24 Depth 2
                                        ;     Child Loop BB31_30 Depth 2
                                        ;     Child Loop BB31_40 Depth 2
                                        ;     Child Loop BB31_46 Depth 2
                                        ;     Child Loop BB31_56 Depth 2
                                        ;     Child Loop BB31_62 Depth 2
                                        ;     Child Loop BB31_72 Depth 2
                                        ;     Child Loop BB31_78 Depth 2
	v_add_co_u32_e32 v29, vcc, 1, v29
	v_cndmask_b32_e64 v4, 0, 1, vcc
	v_addc_co_u32_e32 v30, vcc, 0, v30, vcc
	v_cmp_eq_u32_e32 vcc, 0, v30
	v_cndmask_b32_e32 v4, 0, v4, vcc
	v_add_u32_e32 v42, v4, v42
	v_cmp_eq_u32_e32 vcc, 0, v42
	v_cndmask_b32_e32 v4, 0, v4, vcc
	v_add_u32_e32 v43, v4, v43
	v_mad_u64_u32 v[4:5], s[0:1], v29, s60, 0
	v_mad_u64_u32 v[6:7], s[0:1], v42, s61, 0
	v_xor_b32_e32 v5, v5, v13
	v_xor_b32_e32 v7, v7, v12
	v_xor_b32_e32 v5, v43, v5
	v_xor_b32_e32 v7, v30, v7
	v_mad_u64_u32 v[10:11], s[0:1], v5, s61, 0
	v_mad_u64_u32 v[8:9], s[0:1], v7, s60, 0
	v_xor_b32_e32 v5, v28, v11
	v_xor_b32_e32 v5, v5, v6
	v_xor_b32_e32 v6, v31, v9
	v_xor_b32_e32 v6, v6, v4
	v_mad_u64_u32 v[4:5], s[0:1], v5, s60, 0
	v_mad_u64_u32 v[6:7], s[0:1], v6, s61, 0
	v_xor_b32_e32 v5, v27, v5
	v_xor_b32_e32 v7, v32, v7
	v_xor_b32_e32 v5, v5, v8
	v_xor_b32_e32 v7, v7, v10
	v_mad_u64_u32 v[10:11], s[0:1], v5, s61, 0
	v_mad_u64_u32 v[8:9], s[0:1], v7, s60, 0
	v_xor_b32_e32 v5, v26, v11
	v_xor_b32_e32 v5, v5, v6
	v_xor_b32_e32 v6, v33, v9
	v_xor_b32_e32 v6, v6, v4
	v_mad_u64_u32 v[4:5], s[0:1], v5, s60, 0
	v_mad_u64_u32 v[6:7], s[0:1], v6, s61, 0
	v_xor_b32_e32 v5, v25, v5
	v_xor_b32_e32 v7, v34, v7
	v_xor_b32_e32 v5, v5, v8
	v_xor_b32_e32 v7, v7, v10
	v_mad_u64_u32 v[10:11], s[0:1], v5, s61, 0
	v_mad_u64_u32 v[8:9], s[0:1], v7, s60, 0
	v_xor_b32_e32 v5, v24, v11
	v_xor_b32_e32 v5, v5, v6
	v_xor_b32_e32 v6, v35, v9
	v_xor_b32_e32 v6, v6, v4
	v_mad_u64_u32 v[4:5], s[0:1], v5, s60, 0
	v_mad_u64_u32 v[6:7], s[0:1], v6, s61, 0
	v_xor_b32_e32 v5, v23, v5
	v_xor_b32_e32 v7, v36, v7
	v_xor_b32_e32 v5, v5, v8
	v_xor_b32_e32 v7, v7, v10
	v_mad_u64_u32 v[10:11], s[0:1], v5, s61, 0
	v_mad_u64_u32 v[8:9], s[0:1], v7, s60, 0
	v_xor_b32_e32 v5, v22, v11
	v_xor_b32_e32 v5, v5, v6
	v_xor_b32_e32 v6, v37, v9
	v_xor_b32_e32 v4, v6, v4
	v_mad_u64_u32 v[6:7], s[0:1], v5, s60, 0
	v_mad_u64_u32 v[4:5], s[0:1], v4, s61, 0
	v_xor_b32_e32 v5, v38, v5
	v_xor_b32_e32 v5, v5, v10
	v_xor_b32_e32 v7, v21, v7
	v_xor_b32_e32 v7, v7, v8
	v_mad_u64_u32 v[16:17], s[0:1], v5, s60, 0
	v_mad_u64_u32 v[10:11], s[0:1], v7, s61, 0
	v_xor_b32_e32 v5, v17, v6
	v_xor_b32_e32 v4, v11, v4
	v_xor_b32_e32 v11, v20, v5
	v_xor_b32_e32 v4, v19, v4
	v_mov_b32_e32 v5, v10
	v_mov_b32_e32 v6, v11
	v_cmp_lt_i32_e32 vcc, 1, v18
	s_and_saveexec_b64 s[0:1], vcc
	s_xor_b64 s[0:1], exec, s[0:1]
	s_cbranch_execz .LBB31_15
; %bb.10:                               ;   in Loop: Header=BB31_9 Depth=1
	v_cmp_lt_i32_e32 vcc, 2, v18
	s_and_saveexec_b64 s[2:3], vcc
	s_xor_b64 s[2:3], exec, s[2:3]
; %bb.11:                               ;   in Loop: Header=BB31_9 Depth=1
	v_mov_b32_e32 v8, v3
	v_mov_b32_e32 v9, v4
	v_pk_mov_b32 v[0:1], v[8:9], v[8:9] op_sel:[0,1]
	v_pk_mov_b32 v[2:3], v[10:11], v[10:11] op_sel:[0,1]
                                        ; implicit-def: $vgpr10_vgpr11
; %bb.12:                               ;   in Loop: Header=BB31_9 Depth=1
	s_andn2_saveexec_b64 s[2:3], s[2:3]
; %bb.13:                               ;   in Loop: Header=BB31_9 Depth=1
	v_mov_b32_e32 v0, v2
	v_mov_b32_e32 v1, v3
	;; [unrolled: 1-line block ×4, first 2 shown]
; %bb.14:                               ;   in Loop: Header=BB31_9 Depth=1
	s_or_b64 exec, exec, s[2:3]
.LBB31_15:                              ;   in Loop: Header=BB31_9 Depth=1
	s_andn2_saveexec_b64 s[0:1], s[0:1]
	s_cbranch_execz .LBB31_19
; %bb.16:                               ;   in Loop: Header=BB31_9 Depth=1
	v_cmp_eq_u32_e32 vcc, 1, v18
	s_and_saveexec_b64 s[2:3], vcc
; %bb.17:                               ;   in Loop: Header=BB31_9 Depth=1
	v_mov_b32_e32 v0, v1
	v_mov_b32_e32 v1, v2
	;; [unrolled: 1-line block ×4, first 2 shown]
; %bb.18:                               ;   in Loop: Header=BB31_9 Depth=1
	s_or_b64 exec, exec, s[2:3]
.LBB31_19:                              ;   in Loop: Header=BB31_9 Depth=1
	s_or_b64 exec, exec, s[0:1]
	v_cndmask_b32_e64 v7, 0, 1, s[40:41]
	v_cmp_gt_i64_e32 vcc, s[24:25], v[14:15]
	v_cmp_ne_u32_e64 s[0:1], 1, v7
	s_and_saveexec_b64 s[2:3], vcc
	s_cbranch_execz .LBB31_35
; %bb.20:                               ;   in Loop: Header=BB31_9 Depth=1
	s_and_b64 vcc, exec, s[0:1]
	s_cbranch_vccnz .LBB31_26
; %bb.21:                               ;   in Loop: Header=BB31_9 Depth=1
	s_andn2_b64 vcc, exec, s[42:43]
	s_cbranch_vccnz .LBB31_27
; %bb.22:                               ;   in Loop: Header=BB31_9 Depth=1
	s_mov_b32 s6, 0
	s_andn2_b64 vcc, exec, s[30:31]
	v_mov_b32_e32 v8, 0
	s_cbranch_vccnz .LBB31_28
; %bb.23:                               ;   in Loop: Header=BB31_9 Depth=1
	s_mov_b32 s69, 0
	v_mov_b32_e32 v8, 0
	s_mov_b64 s[54:55], s[34:35]
	s_mov_b64 s[56:57], s[44:45]
	v_mov_b32_e32 v7, v14
.LBB31_24:                              ;   Parent Loop BB31_9 Depth=1
                                        ; =>  This Inner Loop Header: Depth=2
	s_load_dwordx8 s[16:23], s[54:55], 0x4
	s_load_dwordx4 s[4:7], s[54:55], 0x24
	s_load_dwordx4 s[36:39], s[56:57], 0x0
	s_add_u32 s54, s54, 48
	s_addc_u32 s55, s55, 0
	s_waitcnt lgkmcnt(0)
	v_mul_hi_u32 v9, s17, v7
	v_add_u32_e32 v9, v7, v9
	v_lshrrev_b32_e32 v9, s18, v9
	v_mul_lo_u32 v10, v9, s16
	v_mul_hi_u32 v11, s20, v9
	v_sub_u32_e32 v7, v7, v10
	v_add_u32_e32 v10, v9, v11
	v_lshrrev_b32_e32 v10, s21, v10
	v_mul_lo_u32 v11, v10, s19
	v_mul_hi_u32 v17, s23, v10
	v_sub_u32_e32 v9, v9, v11
	v_add_u32_e32 v11, v10, v17
	v_mul_lo_u32 v7, v7, s36
	v_mul_lo_u32 v9, v9, s37
	v_lshrrev_b32_e32 v11, s4, v11
	v_add3_u32 v8, v7, v8, v9
	v_mul_lo_u32 v7, v11, s22
	v_mul_hi_u32 v9, s6, v11
	v_sub_u32_e32 v7, v10, v7
	v_add_u32_e32 v9, v11, v9
	v_mul_lo_u32 v10, v7, s38
	v_lshrrev_b32_e32 v7, s7, v9
	s_add_i32 s69, s69, 4
	v_mul_lo_u32 v9, v7, s5
	s_add_u32 s56, s56, 16
	v_sub_u32_e32 v9, v11, v9
	s_addc_u32 s57, s57, 0
	v_mul_lo_u32 v9, v9, s39
	s_cmp_lg_u32 s65, s69
	v_add3_u32 v8, v10, v8, v9
	s_cbranch_scc1 .LBB31_24
; %bb.25:                               ;   in Loop: Header=BB31_9 Depth=1
	s_mov_b32 s6, s65
	s_andn2_b64 vcc, exec, s[52:53]
	s_cbranch_vccz .LBB31_29
	s_branch .LBB31_31
.LBB31_26:                              ;   in Loop: Header=BB31_9 Depth=1
                                        ; implicit-def: $vgpr8
	s_branch .LBB31_32
.LBB31_27:                              ;   in Loop: Header=BB31_9 Depth=1
	v_mov_b32_e32 v8, 0
	s_branch .LBB31_31
.LBB31_28:                              ;   in Loop: Header=BB31_9 Depth=1
	v_mov_b32_e32 v7, v14
	s_andn2_b64 vcc, exec, s[52:53]
	s_cbranch_vccnz .LBB31_31
.LBB31_29:                              ;   in Loop: Header=BB31_9 Depth=1
	s_lshl_b32 s4, s6, 2
	s_add_u32 s4, s44, s4
	s_addc_u32 s5, s45, 0
	s_mul_i32 s6, s6, 12
	s_add_u32 s6, s34, s6
	s_addc_u32 s7, s35, 0
	s_mov_b32 s16, s64
.LBB31_30:                              ;   Parent Loop BB31_9 Depth=1
                                        ; =>  This Inner Loop Header: Depth=2
	s_load_dwordx2 s[18:19], s[6:7], 0x4
	s_load_dword s17, s[6:7], 0xc
	s_load_dword s20, s[4:5], 0x0
	s_add_u32 s6, s6, 12
	s_addc_u32 s7, s7, 0
	s_waitcnt lgkmcnt(0)
	v_mul_hi_u32 v9, s19, v7
	v_add_u32_e32 v9, v7, v9
	v_lshrrev_b32_e32 v9, s17, v9
	s_add_u32 s4, s4, 4
	v_mul_lo_u32 v10, v9, s18
	s_addc_u32 s5, s5, 0
	s_add_i32 s16, s16, -1
	v_sub_u32_e32 v10, v7, v10
	s_cmp_lg_u32 s16, 0
	v_mov_b32_e32 v7, v9
	v_mad_u64_u32 v[8:9], s[18:19], v10, s20, v[8:9]
	s_cbranch_scc1 .LBB31_30
.LBB31_31:                              ;   in Loop: Header=BB31_9 Depth=1
	s_cbranch_execnz .LBB31_34
.LBB31_32:                              ;   in Loop: Header=BB31_9 Depth=1
	v_mul_hi_u32 v7, v14, s10
	v_add_u32_e32 v7, v7, v14
	v_lshrrev_b32_e32 v7, s11, v7
	v_mul_lo_u32 v8, v7, s9
	v_sub_u32_e32 v8, v14, v8
	s_andn2_b64 vcc, exec, s[48:49]
	v_mul_lo_u32 v8, v8, s46
	s_cbranch_vccnz .LBB31_34
; %bb.33:                               ;   in Loop: Header=BB31_9 Depth=1
	v_mul_hi_u32 v9, s8, v7
	v_add_u32_e32 v9, v7, v9
	v_lshrrev_b32_e32 v9, s14, v9
	v_mul_lo_u32 v9, v9, s12
	v_sub_u32_e32 v7, v7, v9
	v_mad_u64_u32 v[8:9], s[4:5], v7, s47, v[8:9]
.LBB31_34:                              ;   in Loop: Header=BB31_9 Depth=1
	v_cvt_f32_u32_e32 v0, v0
	v_mov_b32_e32 v7, 0x2f800000
	v_fmac_f32_e32 v7, 0x2f800000, v0
	v_cmp_gt_f32_e32 vcc, s66, v7
	v_cndmask_b32_e32 v0, 1.0, v40, vcc
	v_mul_f32_e32 v0, v7, v0
	v_log_f32_e32 v0, v0
	v_cndmask_b32_e32 v7, 0, v41, vcc
	v_mul_f32_e32 v9, 0x3f317217, v0
	v_fma_f32 v10, v0, s67, -v9
	v_fmac_f32_e32 v10, 0x3377d1cf, v0
	v_add_f32_e32 v9, v9, v10
	v_cmp_lt_f32_e64 vcc, |v0|, s68
	v_cndmask_b32_e32 v0, v0, v9, vcc
	v_sub_f32_e32 v0, v0, v7
	v_div_scale_f32 v7, s[4:5], v39, v39, v0
	v_rcp_f32_e32 v9, v7
	v_div_scale_f32 v10, vcc, v0, v39, v0
	v_fma_f32 v11, -v7, v9, 1.0
	v_fmac_f32_e32 v9, v11, v9
	v_mul_f32_e32 v11, v10, v9
	v_fma_f32 v17, -v7, v11, v10
	v_fmac_f32_e32 v11, v17, v9
	v_fma_f32 v7, -v7, v11, v10
	v_div_fmas_f32 v7, v7, v9, v11
	v_div_fixup_f32 v0, v7, v39, v0
	v_ceil_f32_e32 v0, v0
	v_cvt_f16_f32_e32 v0, v0
	global_store_short v8, v0, s[28:29]
.LBB31_35:                              ;   in Loop: Header=BB31_9 Depth=1
	s_or_b64 exec, exec, s[2:3]
	v_mov_b32_e32 v0, s59
	v_add_co_u32_e32 v10, vcc, s33, v14
	v_addc_co_u32_e32 v11, vcc, v15, v0, vcc
	v_cmp_gt_i64_e32 vcc, s[24:25], v[10:11]
	s_and_saveexec_b64 s[2:3], vcc
	s_cbranch_execz .LBB31_51
; %bb.36:                               ;   in Loop: Header=BB31_9 Depth=1
	s_and_b64 vcc, exec, s[0:1]
	s_cbranch_vccnz .LBB31_42
; %bb.37:                               ;   in Loop: Header=BB31_9 Depth=1
	s_andn2_b64 vcc, exec, s[42:43]
	s_cbranch_vccnz .LBB31_43
; %bb.38:                               ;   in Loop: Header=BB31_9 Depth=1
	s_mov_b32 s6, 0
	s_andn2_b64 vcc, exec, s[30:31]
	v_mov_b32_e32 v8, 0
	s_cbranch_vccnz .LBB31_44
; %bb.39:                               ;   in Loop: Header=BB31_9 Depth=1
	s_mov_b32 s69, 0
	v_mov_b32_e32 v8, 0
	s_mov_b64 s[54:55], s[34:35]
	s_mov_b64 s[56:57], s[44:45]
	v_mov_b32_e32 v0, v10
.LBB31_40:                              ;   Parent Loop BB31_9 Depth=1
                                        ; =>  This Inner Loop Header: Depth=2
	s_load_dwordx8 s[16:23], s[54:55], 0x4
	s_load_dwordx4 s[4:7], s[54:55], 0x24
	s_load_dwordx4 s[36:39], s[56:57], 0x0
	s_add_u32 s54, s54, 48
	s_addc_u32 s55, s55, 0
	s_waitcnt lgkmcnt(0)
	v_mul_hi_u32 v7, s17, v0
	v_add_u32_e32 v7, v0, v7
	v_lshrrev_b32_e32 v7, s18, v7
	v_mul_lo_u32 v9, v7, s16
	v_mul_hi_u32 v11, s20, v7
	v_sub_u32_e32 v0, v0, v9
	v_add_u32_e32 v9, v7, v11
	v_lshrrev_b32_e32 v9, s21, v9
	v_mul_lo_u32 v11, v9, s19
	v_mul_hi_u32 v17, s23, v9
	v_sub_u32_e32 v7, v7, v11
	v_add_u32_e32 v11, v9, v17
	v_mul_lo_u32 v0, v0, s36
	v_mul_lo_u32 v7, v7, s37
	v_lshrrev_b32_e32 v11, s4, v11
	v_add3_u32 v7, v0, v8, v7
	v_mul_lo_u32 v0, v11, s22
	v_mul_hi_u32 v8, s6, v11
	v_sub_u32_e32 v0, v9, v0
	v_add_u32_e32 v8, v11, v8
	v_mul_lo_u32 v9, v0, s38
	v_lshrrev_b32_e32 v0, s7, v8
	s_add_i32 s69, s69, 4
	v_mul_lo_u32 v8, v0, s5
	s_add_u32 s56, s56, 16
	v_sub_u32_e32 v8, v11, v8
	s_addc_u32 s57, s57, 0
	v_mul_lo_u32 v8, v8, s39
	s_cmp_eq_u32 s65, s69
	v_add3_u32 v8, v9, v7, v8
	s_cbranch_scc0 .LBB31_40
; %bb.41:                               ;   in Loop: Header=BB31_9 Depth=1
	s_mov_b32 s6, s65
	s_andn2_b64 vcc, exec, s[52:53]
	s_cbranch_vccz .LBB31_45
	s_branch .LBB31_47
.LBB31_42:                              ;   in Loop: Header=BB31_9 Depth=1
                                        ; implicit-def: $vgpr8
	s_branch .LBB31_48
.LBB31_43:                              ;   in Loop: Header=BB31_9 Depth=1
	v_mov_b32_e32 v8, 0
	s_branch .LBB31_47
.LBB31_44:                              ;   in Loop: Header=BB31_9 Depth=1
	v_mov_b32_e32 v0, v10
	s_andn2_b64 vcc, exec, s[52:53]
	s_cbranch_vccnz .LBB31_47
.LBB31_45:                              ;   in Loop: Header=BB31_9 Depth=1
	s_lshl_b32 s4, s6, 2
	s_add_u32 s4, s44, s4
	s_addc_u32 s5, s45, 0
	s_mul_i32 s6, s6, 12
	s_add_u32 s6, s34, s6
	s_addc_u32 s7, s35, 0
	s_mov_b32 s16, s64
.LBB31_46:                              ;   Parent Loop BB31_9 Depth=1
                                        ; =>  This Inner Loop Header: Depth=2
	s_load_dwordx2 s[18:19], s[6:7], 0x4
	s_load_dword s17, s[6:7], 0xc
	s_load_dword s20, s[4:5], 0x0
	s_add_u32 s6, s6, 12
	s_addc_u32 s7, s7, 0
	s_waitcnt lgkmcnt(0)
	v_mul_hi_u32 v7, s19, v0
	v_add_u32_e32 v7, v0, v7
	v_lshrrev_b32_e32 v7, s17, v7
	s_add_u32 s4, s4, 4
	v_mul_lo_u32 v9, v7, s18
	s_addc_u32 s5, s5, 0
	s_add_i32 s16, s16, -1
	v_sub_u32_e32 v9, v0, v9
	s_cmp_lg_u32 s16, 0
	v_mov_b32_e32 v0, v7
	v_mad_u64_u32 v[8:9], s[18:19], v9, s20, v[8:9]
	s_cbranch_scc1 .LBB31_46
.LBB31_47:                              ;   in Loop: Header=BB31_9 Depth=1
	s_cbranch_execnz .LBB31_50
.LBB31_48:                              ;   in Loop: Header=BB31_9 Depth=1
	v_mul_hi_u32 v0, v10, s10
	v_add_u32_e32 v0, v0, v10
	v_lshrrev_b32_e32 v0, s11, v0
	v_mul_lo_u32 v7, v0, s9
	v_sub_u32_e32 v7, v10, v7
	s_andn2_b64 vcc, exec, s[48:49]
	v_mul_lo_u32 v8, v7, s46
	s_cbranch_vccnz .LBB31_50
; %bb.49:                               ;   in Loop: Header=BB31_9 Depth=1
	v_mul_hi_u32 v7, s8, v0
	v_add_u32_e32 v7, v0, v7
	v_lshrrev_b32_e32 v7, s14, v7
	v_mul_lo_u32 v7, v7, s12
	v_sub_u32_e32 v0, v0, v7
	v_mad_u64_u32 v[8:9], s[4:5], v0, s47, v[8:9]
.LBB31_50:                              ;   in Loop: Header=BB31_9 Depth=1
	v_cvt_f32_u32_e32 v0, v1
	v_mov_b32_e32 v1, 0x2f800000
	v_fmac_f32_e32 v1, 0x2f800000, v0
	v_cmp_gt_f32_e32 vcc, s66, v1
	v_cndmask_b32_e32 v0, 1.0, v40, vcc
	v_mul_f32_e32 v0, v1, v0
	v_log_f32_e32 v0, v0
	v_cndmask_b32_e32 v1, 0, v41, vcc
	v_mul_f32_e32 v7, 0x3f317217, v0
	v_fma_f32 v9, v0, s67, -v7
	v_fmac_f32_e32 v9, 0x3377d1cf, v0
	v_add_f32_e32 v7, v7, v9
	v_cmp_lt_f32_e64 vcc, |v0|, s68
	v_cndmask_b32_e32 v0, v0, v7, vcc
	v_sub_f32_e32 v0, v0, v1
	v_div_scale_f32 v1, s[4:5], v39, v39, v0
	v_rcp_f32_e32 v7, v1
	v_div_scale_f32 v9, vcc, v0, v39, v0
	v_fma_f32 v10, -v1, v7, 1.0
	v_fmac_f32_e32 v7, v10, v7
	v_mul_f32_e32 v10, v9, v7
	v_fma_f32 v11, -v1, v10, v9
	v_fmac_f32_e32 v10, v11, v7
	v_fma_f32 v1, -v1, v10, v9
	v_div_fmas_f32 v1, v1, v7, v10
	v_div_fixup_f32 v0, v1, v39, v0
	v_ceil_f32_e32 v0, v0
	v_cvt_f16_f32_e32 v0, v0
	global_store_short v8, v0, s[28:29]
.LBB31_51:                              ;   in Loop: Header=BB31_9 Depth=1
	s_or_b64 exec, exec, s[2:3]
	v_mov_b32_e32 v0, s15
	v_add_co_u32_e32 v8, vcc, s13, v14
	v_addc_co_u32_e32 v9, vcc, v15, v0, vcc
	v_cmp_gt_i64_e32 vcc, s[24:25], v[8:9]
	s_and_saveexec_b64 s[2:3], vcc
	s_cbranch_execz .LBB31_67
; %bb.52:                               ;   in Loop: Header=BB31_9 Depth=1
	s_and_b64 vcc, exec, s[0:1]
	s_cbranch_vccnz .LBB31_58
; %bb.53:                               ;   in Loop: Header=BB31_9 Depth=1
	s_andn2_b64 vcc, exec, s[42:43]
	s_cbranch_vccnz .LBB31_59
; %bb.54:                               ;   in Loop: Header=BB31_9 Depth=1
	s_mov_b32 s6, 0
	s_andn2_b64 vcc, exec, s[30:31]
	v_mov_b32_e32 v0, 0
	s_cbranch_vccnz .LBB31_60
; %bb.55:                               ;   in Loop: Header=BB31_9 Depth=1
	s_mov_b32 s69, 0
	v_mov_b32_e32 v0, 0
	s_mov_b64 s[54:55], s[34:35]
	s_mov_b64 s[56:57], s[44:45]
	v_mov_b32_e32 v7, v8
.LBB31_56:                              ;   Parent Loop BB31_9 Depth=1
                                        ; =>  This Inner Loop Header: Depth=2
	s_load_dwordx8 s[16:23], s[54:55], 0x4
	s_load_dwordx4 s[4:7], s[54:55], 0x24
	s_load_dwordx4 s[36:39], s[56:57], 0x0
	s_add_u32 s54, s54, 48
	s_addc_u32 s55, s55, 0
	s_waitcnt lgkmcnt(0)
	v_mul_hi_u32 v1, s17, v7
	v_add_u32_e32 v1, v7, v1
	v_lshrrev_b32_e32 v1, s18, v1
	v_mul_lo_u32 v9, v1, s16
	v_mul_hi_u32 v10, s20, v1
	v_sub_u32_e32 v7, v7, v9
	v_add_u32_e32 v9, v1, v10
	v_lshrrev_b32_e32 v9, s21, v9
	v_mul_lo_u32 v10, v9, s19
	v_mul_hi_u32 v11, s23, v9
	v_sub_u32_e32 v1, v1, v10
	v_add_u32_e32 v10, v9, v11
	v_mul_lo_u32 v7, v7, s36
	v_mul_lo_u32 v1, v1, s37
	v_lshrrev_b32_e32 v10, s4, v10
	v_add3_u32 v0, v7, v0, v1
	v_mul_hi_u32 v7, s6, v10
	v_add_u32_e32 v7, v10, v7
	v_mul_lo_u32 v1, v10, s22
	v_lshrrev_b32_e32 v7, s7, v7
	s_add_i32 s69, s69, 4
	v_sub_u32_e32 v1, v9, v1
	v_mul_lo_u32 v9, v7, s5
	s_add_u32 s56, s56, 16
	v_sub_u32_e32 v9, v10, v9
	s_addc_u32 s57, s57, 0
	v_mul_lo_u32 v1, v1, s38
	v_mul_lo_u32 v9, v9, s39
	s_cmp_eq_u32 s65, s69
	v_add3_u32 v0, v1, v0, v9
	s_cbranch_scc0 .LBB31_56
; %bb.57:                               ;   in Loop: Header=BB31_9 Depth=1
	s_mov_b32 s6, s65
	s_andn2_b64 vcc, exec, s[52:53]
	s_cbranch_vccz .LBB31_61
	s_branch .LBB31_63
.LBB31_58:                              ;   in Loop: Header=BB31_9 Depth=1
                                        ; implicit-def: $vgpr0
	s_branch .LBB31_64
.LBB31_59:                              ;   in Loop: Header=BB31_9 Depth=1
	v_mov_b32_e32 v0, 0
	s_branch .LBB31_63
.LBB31_60:                              ;   in Loop: Header=BB31_9 Depth=1
	v_mov_b32_e32 v7, v8
	s_andn2_b64 vcc, exec, s[52:53]
	s_cbranch_vccnz .LBB31_63
.LBB31_61:                              ;   in Loop: Header=BB31_9 Depth=1
	s_lshl_b32 s4, s6, 2
	s_add_u32 s4, s44, s4
	s_addc_u32 s5, s45, 0
	s_mul_i32 s6, s6, 12
	s_add_u32 s6, s34, s6
	s_addc_u32 s7, s35, 0
	s_mov_b32 s16, s64
.LBB31_62:                              ;   Parent Loop BB31_9 Depth=1
                                        ; =>  This Inner Loop Header: Depth=2
	s_load_dwordx2 s[18:19], s[6:7], 0x4
	s_load_dword s17, s[6:7], 0xc
	s_load_dword s20, s[4:5], 0x0
	s_add_u32 s6, s6, 12
	s_addc_u32 s7, s7, 0
	s_waitcnt lgkmcnt(0)
	v_mul_hi_u32 v1, s19, v7
	v_add_u32_e32 v1, v7, v1
	v_lshrrev_b32_e32 v1, s17, v1
	s_add_u32 s4, s4, 4
	v_mul_lo_u32 v9, v1, s18
	s_addc_u32 s5, s5, 0
	s_add_i32 s16, s16, -1
	v_sub_u32_e32 v9, v7, v9
	s_cmp_lg_u32 s16, 0
	v_mov_b32_e32 v7, v1
	v_mad_u64_u32 v[0:1], s[18:19], v9, s20, v[0:1]
	s_cbranch_scc1 .LBB31_62
.LBB31_63:                              ;   in Loop: Header=BB31_9 Depth=1
	s_cbranch_execnz .LBB31_66
.LBB31_64:                              ;   in Loop: Header=BB31_9 Depth=1
	v_mul_hi_u32 v0, v8, s10
	v_add_u32_e32 v0, v0, v8
	v_lshrrev_b32_e32 v1, s11, v0
	v_mul_lo_u32 v0, v1, s9
	v_sub_u32_e32 v0, v8, v0
	s_andn2_b64 vcc, exec, s[48:49]
	v_mul_lo_u32 v0, v0, s46
	s_cbranch_vccnz .LBB31_66
; %bb.65:                               ;   in Loop: Header=BB31_9 Depth=1
	v_mul_hi_u32 v7, s8, v1
	v_add_u32_e32 v7, v1, v7
	v_lshrrev_b32_e32 v7, s14, v7
	v_mul_lo_u32 v7, v7, s12
	v_sub_u32_e32 v1, v1, v7
	v_mad_u64_u32 v[0:1], s[4:5], v1, s47, v[0:1]
.LBB31_66:                              ;   in Loop: Header=BB31_9 Depth=1
	v_cvt_f32_u32_e32 v1, v2
	v_mov_b32_e32 v2, 0x2f800000
	v_fmac_f32_e32 v2, 0x2f800000, v1
	v_cmp_gt_f32_e32 vcc, s66, v2
	v_cndmask_b32_e32 v1, 1.0, v40, vcc
	v_mul_f32_e32 v1, v2, v1
	v_log_f32_e32 v1, v1
	v_cndmask_b32_e32 v2, 0, v41, vcc
	v_mul_f32_e32 v7, 0x3f317217, v1
	v_fma_f32 v8, v1, s67, -v7
	v_fmac_f32_e32 v8, 0x3377d1cf, v1
	v_add_f32_e32 v7, v7, v8
	v_cmp_lt_f32_e64 vcc, |v1|, s68
	v_cndmask_b32_e32 v1, v1, v7, vcc
	v_sub_f32_e32 v1, v1, v2
	v_div_scale_f32 v2, s[4:5], v39, v39, v1
	v_rcp_f32_e32 v7, v2
	v_div_scale_f32 v8, vcc, v1, v39, v1
	v_fma_f32 v9, -v2, v7, 1.0
	v_fmac_f32_e32 v7, v9, v7
	v_mul_f32_e32 v9, v8, v7
	v_fma_f32 v10, -v2, v9, v8
	v_fmac_f32_e32 v9, v10, v7
	v_fma_f32 v2, -v2, v9, v8
	v_div_fmas_f32 v2, v2, v7, v9
	v_div_fixup_f32 v1, v2, v39, v1
	v_ceil_f32_e32 v1, v1
	v_cvt_f16_f32_e32 v1, v1
	global_store_short v0, v1, s[28:29]
.LBB31_67:                              ;   in Loop: Header=BB31_9 Depth=1
	s_or_b64 exec, exec, s[2:3]
	v_mov_b32_e32 v0, s63
	v_add_co_u32_e32 v8, vcc, s62, v14
	v_addc_co_u32_e32 v9, vcc, v15, v0, vcc
	v_cmp_gt_i64_e32 vcc, s[24:25], v[8:9]
	s_and_saveexec_b64 s[36:37], vcc
	s_cbranch_execz .LBB31_8
; %bb.68:                               ;   in Loop: Header=BB31_9 Depth=1
	s_and_b64 vcc, exec, s[0:1]
	s_cbranch_vccnz .LBB31_74
; %bb.69:                               ;   in Loop: Header=BB31_9 Depth=1
	s_andn2_b64 vcc, exec, s[42:43]
	s_cbranch_vccnz .LBB31_75
; %bb.70:                               ;   in Loop: Header=BB31_9 Depth=1
	s_mov_b32 s2, 0
	s_andn2_b64 vcc, exec, s[30:31]
	v_mov_b32_e32 v0, 0
	s_cbranch_vccnz .LBB31_76
; %bb.71:                               ;   in Loop: Header=BB31_9 Depth=1
	s_mov_b32 s56, 0
	v_mov_b32_e32 v0, 0
	s_mov_b64 s[38:39], s[34:35]
	s_mov_b64 s[54:55], s[44:45]
	v_mov_b32_e32 v2, v8
.LBB31_72:                              ;   Parent Loop BB31_9 Depth=1
                                        ; =>  This Inner Loop Header: Depth=2
	s_load_dwordx8 s[0:7], s[38:39], 0x4
	s_load_dwordx4 s[16:19], s[38:39], 0x24
	s_load_dwordx4 s[20:23], s[54:55], 0x0
	s_add_u32 s38, s38, 48
	s_addc_u32 s39, s39, 0
	s_waitcnt lgkmcnt(0)
	v_mul_hi_u32 v1, s1, v2
	v_add_u32_e32 v1, v2, v1
	v_lshrrev_b32_e32 v1, s2, v1
	v_mul_lo_u32 v7, v1, s0
	v_mul_hi_u32 v9, s4, v1
	v_sub_u32_e32 v2, v2, v7
	v_add_u32_e32 v7, v1, v9
	v_lshrrev_b32_e32 v7, s5, v7
	v_mul_lo_u32 v9, v7, s3
	v_mul_hi_u32 v10, s7, v7
	v_sub_u32_e32 v1, v1, v9
	v_add_u32_e32 v9, v7, v10
	v_mul_lo_u32 v2, v2, s20
	v_mul_lo_u32 v1, v1, s21
	v_lshrrev_b32_e32 v9, s16, v9
	v_add3_u32 v0, v2, v0, v1
	v_mul_hi_u32 v2, s18, v9
	v_add_u32_e32 v2, v9, v2
	v_mul_lo_u32 v1, v9, s6
	v_lshrrev_b32_e32 v2, s19, v2
	s_add_i32 s56, s56, 4
	v_sub_u32_e32 v1, v7, v1
	v_mul_lo_u32 v7, v2, s17
	s_add_u32 s54, s54, 16
	v_sub_u32_e32 v7, v9, v7
	s_addc_u32 s55, s55, 0
	v_mul_lo_u32 v1, v1, s22
	v_mul_lo_u32 v7, v7, s23
	s_cmp_eq_u32 s65, s56
	v_add3_u32 v0, v1, v0, v7
	s_cbranch_scc0 .LBB31_72
; %bb.73:                               ;   in Loop: Header=BB31_9 Depth=1
	s_mov_b32 s2, s65
	s_andn2_b64 vcc, exec, s[52:53]
	s_cbranch_vccz .LBB31_77
	s_branch .LBB31_79
.LBB31_74:                              ;   in Loop: Header=BB31_9 Depth=1
                                        ; implicit-def: $vgpr0
	s_branch .LBB31_80
.LBB31_75:                              ;   in Loop: Header=BB31_9 Depth=1
	v_mov_b32_e32 v0, 0
	s_branch .LBB31_79
.LBB31_76:                              ;   in Loop: Header=BB31_9 Depth=1
	v_mov_b32_e32 v2, v8
	s_andn2_b64 vcc, exec, s[52:53]
	s_cbranch_vccnz .LBB31_79
.LBB31_77:                              ;   in Loop: Header=BB31_9 Depth=1
	s_lshl_b32 s0, s2, 2
	s_add_u32 s0, s44, s0
	s_addc_u32 s1, s45, 0
	s_mul_i32 s2, s2, 12
	s_add_u32 s2, s34, s2
	s_addc_u32 s3, s35, 0
	s_mov_b32 s4, s64
.LBB31_78:                              ;   Parent Loop BB31_9 Depth=1
                                        ; =>  This Inner Loop Header: Depth=2
	s_load_dwordx2 s[6:7], s[2:3], 0x4
	s_load_dword s5, s[2:3], 0xc
	s_load_dword s16, s[0:1], 0x0
	s_add_u32 s2, s2, 12
	s_addc_u32 s3, s3, 0
	s_waitcnt lgkmcnt(0)
	v_mul_hi_u32 v1, s7, v2
	v_add_u32_e32 v1, v2, v1
	v_lshrrev_b32_e32 v1, s5, v1
	s_add_u32 s0, s0, 4
	v_mul_lo_u32 v7, v1, s6
	s_addc_u32 s1, s1, 0
	s_add_i32 s4, s4, -1
	v_sub_u32_e32 v7, v2, v7
	s_cmp_lg_u32 s4, 0
	v_mov_b32_e32 v2, v1
	v_mad_u64_u32 v[0:1], s[6:7], v7, s16, v[0:1]
	s_cbranch_scc1 .LBB31_78
.LBB31_79:                              ;   in Loop: Header=BB31_9 Depth=1
	s_cbranch_execnz .LBB31_7
.LBB31_80:                              ;   in Loop: Header=BB31_9 Depth=1
	v_mul_hi_u32 v0, v8, s10
	v_add_u32_e32 v0, v0, v8
	v_lshrrev_b32_e32 v1, s11, v0
	v_mul_lo_u32 v0, v1, s9
	v_sub_u32_e32 v0, v8, v0
	s_andn2_b64 vcc, exec, s[48:49]
	v_mul_lo_u32 v0, v0, s46
	s_cbranch_vccnz .LBB31_7
; %bb.81:                               ;   in Loop: Header=BB31_9 Depth=1
	v_mul_hi_u32 v2, s8, v1
	v_add_u32_e32 v2, v1, v2
	v_lshrrev_b32_e32 v2, s14, v2
	v_mul_lo_u32 v2, v2, s12
	v_sub_u32_e32 v1, v1, v2
	v_mad_u64_u32 v[0:1], s[0:1], v1, s47, v[0:1]
	s_branch .LBB31_7
.LBB31_82:
	s_endpgm
.LBB31_83:
                                        ; implicit-def: $sgpr2_sgpr3
	s_andn2_b64 vcc, exec, s[0:1]
	s_cbranch_vccz .LBB31_4
	s_branch .LBB31_5
	.section	.rodata,"a",@progbits
	.p2align	6, 0x0
	.amdhsa_kernel _ZN2at6native12_GLOBAL__N_143distribution_elementwise_grid_stride_kernelIfLi4EZNS0_9templates4cuda21uniform_and_transformIN3c104HalfEfPNS_17CUDAGeneratorImplEZZZNS4_16geometric_kernelIS9_EEvRNS_18TensorIteratorBaseEdT_ENKUlvE_clEvENKUlvE6_clEvEUlfE_EEvSC_T1_T2_EUlP25hiprandStatePhilox4_32_10E0_ZNS1_27distribution_nullary_kernelIS7_f15HIP_vector_typeIfLj4EES9_SL_SG_EEvSC_SI_RKT3_T4_EUlifE0_EEvlNS_15PhiloxCudaStateESH_SI_
		.amdhsa_group_segment_fixed_size 0
		.amdhsa_private_segment_fixed_size 0
		.amdhsa_kernarg_size 584
		.amdhsa_user_sgpr_count 6
		.amdhsa_user_sgpr_private_segment_buffer 1
		.amdhsa_user_sgpr_dispatch_ptr 0
		.amdhsa_user_sgpr_queue_ptr 0
		.amdhsa_user_sgpr_kernarg_segment_ptr 1
		.amdhsa_user_sgpr_dispatch_id 0
		.amdhsa_user_sgpr_flat_scratch_init 0
		.amdhsa_user_sgpr_kernarg_preload_length 0
		.amdhsa_user_sgpr_kernarg_preload_offset 0
		.amdhsa_user_sgpr_private_segment_size 0
		.amdhsa_uses_dynamic_stack 0
		.amdhsa_system_sgpr_private_segment_wavefront_offset 0
		.amdhsa_system_sgpr_workgroup_id_x 1
		.amdhsa_system_sgpr_workgroup_id_y 0
		.amdhsa_system_sgpr_workgroup_id_z 0
		.amdhsa_system_sgpr_workgroup_info 0
		.amdhsa_system_vgpr_workitem_id 0
		.amdhsa_next_free_vgpr 44
		.amdhsa_next_free_sgpr 70
		.amdhsa_accum_offset 44
		.amdhsa_reserve_vcc 1
		.amdhsa_reserve_flat_scratch 0
		.amdhsa_float_round_mode_32 0
		.amdhsa_float_round_mode_16_64 0
		.amdhsa_float_denorm_mode_32 3
		.amdhsa_float_denorm_mode_16_64 3
		.amdhsa_dx10_clamp 1
		.amdhsa_ieee_mode 1
		.amdhsa_fp16_overflow 0
		.amdhsa_tg_split 0
		.amdhsa_exception_fp_ieee_invalid_op 0
		.amdhsa_exception_fp_denorm_src 0
		.amdhsa_exception_fp_ieee_div_zero 0
		.amdhsa_exception_fp_ieee_overflow 0
		.amdhsa_exception_fp_ieee_underflow 0
		.amdhsa_exception_fp_ieee_inexact 0
		.amdhsa_exception_int_div_zero 0
	.end_amdhsa_kernel
	.section	.text._ZN2at6native12_GLOBAL__N_143distribution_elementwise_grid_stride_kernelIfLi4EZNS0_9templates4cuda21uniform_and_transformIN3c104HalfEfPNS_17CUDAGeneratorImplEZZZNS4_16geometric_kernelIS9_EEvRNS_18TensorIteratorBaseEdT_ENKUlvE_clEvENKUlvE6_clEvEUlfE_EEvSC_T1_T2_EUlP25hiprandStatePhilox4_32_10E0_ZNS1_27distribution_nullary_kernelIS7_f15HIP_vector_typeIfLj4EES9_SL_SG_EEvSC_SI_RKT3_T4_EUlifE0_EEvlNS_15PhiloxCudaStateESH_SI_,"axG",@progbits,_ZN2at6native12_GLOBAL__N_143distribution_elementwise_grid_stride_kernelIfLi4EZNS0_9templates4cuda21uniform_and_transformIN3c104HalfEfPNS_17CUDAGeneratorImplEZZZNS4_16geometric_kernelIS9_EEvRNS_18TensorIteratorBaseEdT_ENKUlvE_clEvENKUlvE6_clEvEUlfE_EEvSC_T1_T2_EUlP25hiprandStatePhilox4_32_10E0_ZNS1_27distribution_nullary_kernelIS7_f15HIP_vector_typeIfLj4EES9_SL_SG_EEvSC_SI_RKT3_T4_EUlifE0_EEvlNS_15PhiloxCudaStateESH_SI_,comdat
.Lfunc_end31:
	.size	_ZN2at6native12_GLOBAL__N_143distribution_elementwise_grid_stride_kernelIfLi4EZNS0_9templates4cuda21uniform_and_transformIN3c104HalfEfPNS_17CUDAGeneratorImplEZZZNS4_16geometric_kernelIS9_EEvRNS_18TensorIteratorBaseEdT_ENKUlvE_clEvENKUlvE6_clEvEUlfE_EEvSC_T1_T2_EUlP25hiprandStatePhilox4_32_10E0_ZNS1_27distribution_nullary_kernelIS7_f15HIP_vector_typeIfLj4EES9_SL_SG_EEvSC_SI_RKT3_T4_EUlifE0_EEvlNS_15PhiloxCudaStateESH_SI_, .Lfunc_end31-_ZN2at6native12_GLOBAL__N_143distribution_elementwise_grid_stride_kernelIfLi4EZNS0_9templates4cuda21uniform_and_transformIN3c104HalfEfPNS_17CUDAGeneratorImplEZZZNS4_16geometric_kernelIS9_EEvRNS_18TensorIteratorBaseEdT_ENKUlvE_clEvENKUlvE6_clEvEUlfE_EEvSC_T1_T2_EUlP25hiprandStatePhilox4_32_10E0_ZNS1_27distribution_nullary_kernelIS7_f15HIP_vector_typeIfLj4EES9_SL_SG_EEvSC_SI_RKT3_T4_EUlifE0_EEvlNS_15PhiloxCudaStateESH_SI_
                                        ; -- End function
	.section	.AMDGPU.csdata,"",@progbits
; Kernel info:
; codeLenInByte = 5568
; NumSgprs: 74
; NumVgprs: 44
; NumAgprs: 0
; TotalNumVgprs: 44
; ScratchSize: 0
; MemoryBound: 0
; FloatMode: 240
; IeeeMode: 1
; LDSByteSize: 0 bytes/workgroup (compile time only)
; SGPRBlocks: 9
; VGPRBlocks: 5
; NumSGPRsForWavesPerEU: 74
; NumVGPRsForWavesPerEU: 44
; AccumOffset: 44
; Occupancy: 8
; WaveLimiterHint : 1
; COMPUTE_PGM_RSRC2:SCRATCH_EN: 0
; COMPUTE_PGM_RSRC2:USER_SGPR: 6
; COMPUTE_PGM_RSRC2:TRAP_HANDLER: 0
; COMPUTE_PGM_RSRC2:TGID_X_EN: 1
; COMPUTE_PGM_RSRC2:TGID_Y_EN: 0
; COMPUTE_PGM_RSRC2:TGID_Z_EN: 0
; COMPUTE_PGM_RSRC2:TIDIG_COMP_CNT: 0
; COMPUTE_PGM_RSRC3_GFX90A:ACCUM_OFFSET: 10
; COMPUTE_PGM_RSRC3_GFX90A:TG_SPLIT: 0
	.section	.text._ZN2at6native12_GLOBAL__N_143distribution_elementwise_grid_stride_kernelIfLi4EZNS0_9templates4cuda21uniform_and_transformIN3c108BFloat16EfPNS_17CUDAGeneratorImplEZZZNS4_16geometric_kernelIS9_EEvRNS_18TensorIteratorBaseEdT_ENKUlvE_clEvENKUlvE7_clEvEUlfE_EEvSC_T1_T2_EUlP25hiprandStatePhilox4_32_10E_ZNS1_27distribution_nullary_kernelIS7_f15HIP_vector_typeIdLj2EES9_SL_SG_EEvSC_SI_RKT3_T4_EUlifE_EEvlNS_15PhiloxCudaStateESH_SI_,"axG",@progbits,_ZN2at6native12_GLOBAL__N_143distribution_elementwise_grid_stride_kernelIfLi4EZNS0_9templates4cuda21uniform_and_transformIN3c108BFloat16EfPNS_17CUDAGeneratorImplEZZZNS4_16geometric_kernelIS9_EEvRNS_18TensorIteratorBaseEdT_ENKUlvE_clEvENKUlvE7_clEvEUlfE_EEvSC_T1_T2_EUlP25hiprandStatePhilox4_32_10E_ZNS1_27distribution_nullary_kernelIS7_f15HIP_vector_typeIdLj2EES9_SL_SG_EEvSC_SI_RKT3_T4_EUlifE_EEvlNS_15PhiloxCudaStateESH_SI_,comdat
	.globl	_ZN2at6native12_GLOBAL__N_143distribution_elementwise_grid_stride_kernelIfLi4EZNS0_9templates4cuda21uniform_and_transformIN3c108BFloat16EfPNS_17CUDAGeneratorImplEZZZNS4_16geometric_kernelIS9_EEvRNS_18TensorIteratorBaseEdT_ENKUlvE_clEvENKUlvE7_clEvEUlfE_EEvSC_T1_T2_EUlP25hiprandStatePhilox4_32_10E_ZNS1_27distribution_nullary_kernelIS7_f15HIP_vector_typeIdLj2EES9_SL_SG_EEvSC_SI_RKT3_T4_EUlifE_EEvlNS_15PhiloxCudaStateESH_SI_ ; -- Begin function _ZN2at6native12_GLOBAL__N_143distribution_elementwise_grid_stride_kernelIfLi4EZNS0_9templates4cuda21uniform_and_transformIN3c108BFloat16EfPNS_17CUDAGeneratorImplEZZZNS4_16geometric_kernelIS9_EEvRNS_18TensorIteratorBaseEdT_ENKUlvE_clEvENKUlvE7_clEvEUlfE_EEvSC_T1_T2_EUlP25hiprandStatePhilox4_32_10E_ZNS1_27distribution_nullary_kernelIS7_f15HIP_vector_typeIdLj2EES9_SL_SG_EEvSC_SI_RKT3_T4_EUlifE_EEvlNS_15PhiloxCudaStateESH_SI_
	.p2align	8
	.type	_ZN2at6native12_GLOBAL__N_143distribution_elementwise_grid_stride_kernelIfLi4EZNS0_9templates4cuda21uniform_and_transformIN3c108BFloat16EfPNS_17CUDAGeneratorImplEZZZNS4_16geometric_kernelIS9_EEvRNS_18TensorIteratorBaseEdT_ENKUlvE_clEvENKUlvE7_clEvEUlfE_EEvSC_T1_T2_EUlP25hiprandStatePhilox4_32_10E_ZNS1_27distribution_nullary_kernelIS7_f15HIP_vector_typeIdLj2EES9_SL_SG_EEvSC_SI_RKT3_T4_EUlifE_EEvlNS_15PhiloxCudaStateESH_SI_,@function
_ZN2at6native12_GLOBAL__N_143distribution_elementwise_grid_stride_kernelIfLi4EZNS0_9templates4cuda21uniform_and_transformIN3c108BFloat16EfPNS_17CUDAGeneratorImplEZZZNS4_16geometric_kernelIS9_EEvRNS_18TensorIteratorBaseEdT_ENKUlvE_clEvENKUlvE7_clEvEUlfE_EEvSC_T1_T2_EUlP25hiprandStatePhilox4_32_10E_ZNS1_27distribution_nullary_kernelIS7_f15HIP_vector_typeIdLj2EES9_SL_SG_EEvSC_SI_RKT3_T4_EUlifE_EEvlNS_15PhiloxCudaStateESH_SI_: ; @_ZN2at6native12_GLOBAL__N_143distribution_elementwise_grid_stride_kernelIfLi4EZNS0_9templates4cuda21uniform_and_transformIN3c108BFloat16EfPNS_17CUDAGeneratorImplEZZZNS4_16geometric_kernelIS9_EEvRNS_18TensorIteratorBaseEdT_ENKUlvE_clEvENKUlvE7_clEvEUlfE_EEvSC_T1_T2_EUlP25hiprandStatePhilox4_32_10E_ZNS1_27distribution_nullary_kernelIS7_f15HIP_vector_typeIdLj2EES9_SL_SG_EEvSC_SI_RKT3_T4_EUlifE_EEvlNS_15PhiloxCudaStateESH_SI_
; %bb.0:
	s_load_dword s2, s[4:5], 0x20
	s_load_dwordx2 s[0:1], s[4:5], 0x10
	s_load_dwordx4 s[8:11], s[4:5], 0x0
	s_waitcnt lgkmcnt(0)
	s_bitcmp0_b32 s2, 0
	s_mov_b32 s2, 0
	v_pk_mov_b32 v[2:3], s[0:1], s[0:1] op_sel:[0,1]
	v_pk_mov_b32 v[14:15], s[10:11], s[10:11] op_sel:[0,1]
	s_cbranch_scc1 .LBB32_2
; %bb.1:
	v_pk_mov_b32 v[2:3], s[0:1], s[0:1] op_sel:[0,1]
	flat_load_dwordx2 v[2:3], v[2:3]
	v_pk_mov_b32 v[4:5], s[10:11], s[10:11] op_sel:[0,1]
	flat_load_dwordx2 v[14:15], v[4:5]
	s_load_dwordx2 s[0:1], s[4:5], 0x18
	s_waitcnt lgkmcnt(0)
	v_mov_b32_e32 v1, s1
	s_waitcnt vmcnt(0)
	v_add_co_u32_e32 v2, vcc, s0, v2
	v_addc_co_u32_e32 v3, vcc, v3, v1, vcc
.LBB32_2:
	s_load_dword s0, s[4:5], 0x54
	s_load_dword s17, s[4:5], 0x48
	s_waitcnt lgkmcnt(0)
	s_and_b32 s7, s0, 0xffff
	s_add_u32 s10, s8, -1
	s_mul_i32 s12, s17, s7
	s_addc_u32 s3, s9, -1
	s_lshl_b32 s13, s12, 2
	s_cmp_lg_u64 s[2:3], 0
	s_mov_b64 s[0:1], -1
	s_cbranch_scc0 .LBB32_27
; %bb.3:
	v_cvt_f32_u32_e32 v1, s13
	v_cvt_f32_ubyte0_e32 v4, 0
	s_sub_u32 s2, 0, s13
	s_subb_u32 s11, 0, 0
	v_madmk_f32 v1, v4, 0x4f800000, v1
	v_rcp_f32_e32 v1, v1
	v_mul_f32_e32 v1, 0x5f7ffffc, v1
	v_mul_f32_e32 v4, 0x2f800000, v1
	v_trunc_f32_e32 v4, v4
	v_madmk_f32 v1, v4, 0xcf800000, v1
	v_cvt_u32_f32_e32 v4, v4
	v_cvt_u32_f32_e32 v1, v1
	v_readfirstlane_b32 s14, v4
	v_readfirstlane_b32 s15, v1
	s_mul_i32 s16, s2, s14
	s_mul_hi_u32 s19, s2, s15
	s_mul_i32 s18, s11, s15
	s_add_i32 s16, s19, s16
	s_add_i32 s16, s16, s18
	s_mul_i32 s20, s2, s15
	s_mul_hi_u32 s18, s15, s16
	s_mul_i32 s19, s15, s16
	s_mul_hi_u32 s15, s15, s20
	s_add_u32 s15, s15, s19
	s_addc_u32 s18, 0, s18
	s_mul_hi_u32 s21, s14, s20
	s_mul_i32 s20, s14, s20
	s_add_u32 s15, s15, s20
	s_mul_hi_u32 s19, s14, s16
	s_addc_u32 s15, s18, s21
	s_addc_u32 s18, s19, 0
	s_mul_i32 s16, s14, s16
	s_add_u32 s15, s15, s16
	s_addc_u32 s16, 0, s18
	v_add_co_u32_e32 v1, vcc, s15, v1
	s_cmp_lg_u64 vcc, 0
	s_addc_u32 s14, s14, s16
	v_readfirstlane_b32 s16, v1
	s_mul_i32 s15, s2, s14
	s_mul_hi_u32 s18, s2, s16
	s_add_i32 s15, s18, s15
	s_mul_i32 s11, s11, s16
	s_add_i32 s15, s15, s11
	s_mul_i32 s2, s2, s16
	s_mul_hi_u32 s18, s14, s2
	s_mul_i32 s19, s14, s2
	s_mul_i32 s21, s16, s15
	s_mul_hi_u32 s2, s16, s2
	s_mul_hi_u32 s20, s16, s15
	s_add_u32 s2, s2, s21
	s_addc_u32 s16, 0, s20
	s_add_u32 s2, s2, s19
	s_mul_hi_u32 s11, s14, s15
	s_addc_u32 s2, s16, s18
	s_addc_u32 s11, s11, 0
	s_mul_i32 s15, s14, s15
	s_add_u32 s2, s2, s15
	s_addc_u32 s11, 0, s11
	v_add_co_u32_e32 v1, vcc, s2, v1
	s_cmp_lg_u64 vcc, 0
	s_addc_u32 s11, s14, s11
	s_ashr_i32 s14, s3, 31
	s_add_u32 s2, s10, s14
	s_mov_b32 s15, s14
	s_addc_u32 s3, s3, s14
	s_xor_b64 s[2:3], s[2:3], s[14:15]
	v_readfirstlane_b32 s19, v1
	s_mul_i32 s18, s2, s11
	s_mul_hi_u32 s20, s2, s19
	s_mul_hi_u32 s16, s2, s11
	s_add_u32 s18, s20, s18
	s_addc_u32 s16, 0, s16
	s_mul_hi_u32 s21, s3, s19
	s_mul_i32 s19, s3, s19
	s_add_u32 s18, s18, s19
	s_mul_hi_u32 s20, s3, s11
	s_addc_u32 s16, s16, s21
	s_addc_u32 s18, s20, 0
	s_mul_i32 s11, s3, s11
	s_add_u32 s11, s16, s11
	s_addc_u32 s16, 0, s18
	s_add_u32 s18, s11, 1
	s_addc_u32 s19, s16, 0
	s_add_u32 s20, s11, 2
	s_mul_i32 s22, s13, s16
	s_mul_hi_u32 s23, s13, s11
	s_addc_u32 s21, s16, 0
	s_add_i32 s23, s23, s22
	s_mul_i32 s22, s13, s11
	v_mov_b32_e32 v1, s22
	v_sub_co_u32_e32 v1, vcc, s2, v1
	s_cmp_lg_u64 vcc, 0
	s_subb_u32 s2, s3, s23
	v_subrev_co_u32_e32 v4, vcc, s13, v1
	s_cmp_lg_u64 vcc, 0
	s_subb_u32 s3, s2, 0
	v_readfirstlane_b32 s22, v4
	s_cmp_ge_u32 s22, s13
	s_cselect_b32 s22, -1, 0
	s_cmp_eq_u32 s3, 0
	s_cselect_b32 s3, s22, -1
	s_cmp_lg_u32 s3, 0
	s_cselect_b32 s3, s21, s19
	v_readfirstlane_b32 s19, v1
	s_cselect_b32 s18, s20, s18
	s_cmp_ge_u32 s19, s13
	s_cselect_b32 s19, -1, 0
	s_cmp_eq_u32 s2, 0
	s_cselect_b32 s2, s19, -1
	s_cmp_lg_u32 s2, 0
	s_cselect_b32 s3, s3, s16
	s_cselect_b32 s2, s18, s11
	s_xor_b64 s[2:3], s[2:3], s[14:15]
	s_sub_u32 s2, s2, s14
	s_subb_u32 s3, s3, s14
	s_cbranch_execnz .LBB32_5
.LBB32_4:
	v_cvt_f32_u32_e32 v1, s13
	s_sub_i32 s0, 0, s13
	s_mov_b32 s3, 0
	v_rcp_iflag_f32_e32 v1, v1
	v_mul_f32_e32 v1, 0x4f7ffffe, v1
	v_cvt_u32_f32_e32 v1, v1
	v_readfirstlane_b32 s1, v1
	s_mul_i32 s0, s0, s1
	s_mul_hi_u32 s0, s1, s0
	s_add_i32 s1, s1, s0
	s_mul_hi_u32 s0, s10, s1
	s_mul_i32 s2, s0, s13
	s_sub_i32 s2, s10, s2
	s_add_i32 s1, s0, 1
	s_sub_i32 s10, s2, s13
	s_cmp_ge_u32 s2, s13
	s_cselect_b32 s0, s1, s0
	s_cselect_b32 s2, s10, s2
	s_add_i32 s1, s0, 1
	s_cmp_ge_u32 s2, s13
	s_cselect_b32 s2, s1, s0
.LBB32_5:
	v_mov_b32_e32 v1, 0
	v_mov_b32_e32 v4, s6
	v_mad_u64_u32 v[16:17], s[0:1], s7, v4, v[0:1]
	s_add_u32 s0, s2, 1
	s_addc_u32 s1, s3, 0
	s_mul_hi_u32 s2, s17, s7
	s_mul_i32 s1, s12, s1
	s_mul_hi_u32 s3, s12, s0
	s_add_i32 s1, s3, s1
	s_mul_i32 s2, s2, s0
	s_add_i32 s1, s1, s2
	s_mul_i32 s0, s12, s0
	s_lshl_b64 s[2:3], s[0:1], 2
	v_cmp_gt_i64_e32 vcc, s[2:3], v[16:17]
	s_and_saveexec_b64 s[0:1], vcc
	s_cbranch_execz .LBB32_26
; %bb.6:
	s_load_dwordx2 s[10:11], s[4:5], 0x30
	s_load_dword s26, s[4:5], 0x38
	s_load_dwordx2 s[0:1], s[4:5], 0x40
	s_mov_b32 s4, 0x5384540f
	v_mov_b32_e32 v4, v15
	v_add_co_u32_e32 v22, vcc, s4, v14
	s_mov_b32 s4, 0x646e171e
	v_add_co_u32_e32 v23, vcc, s4, v4
	s_mov_b32 s4, 0x1715609d
	;; [unrolled: 2-line block ×6, first 2 shown]
	v_alignbit_b32 v29, v3, v2, 2
	s_mov_b32 s15, 0xd2511f53
	v_add_co_u32_e32 v28, vcc, s4, v14
	v_mad_u64_u32 v[6:7], s[4:5], v29, s15, 0
	v_xor_b32_e32 v1, v7, v15
	v_xor_b32_e32 v1, v1, v17
	s_mov_b32 s16, 0xcd9e8d57
	v_mad_u64_u32 v[8:9], s[4:5], v1, s16, 0
	v_xor_b32_e32 v1, v28, v9
	v_mad_u64_u32 v[10:11], s[4:5], v16, s16, 0
	v_and_b32_e32 v18, 3, v2
	v_xor_b32_e32 v1, v1, v10
	v_xor_b32_e32 v2, v14, v11
	v_lshrrev_b32_e32 v30, 2, v3
	v_mad_u64_u32 v[12:13], s[4:5], v1, s15, 0
	v_xor_b32_e32 v2, v2, v30
	v_xor_b32_e32 v1, v27, v13
	v_mad_u64_u32 v[2:3], s[4:5], v2, s15, 0
	v_xor_b32_e32 v1, v1, v2
	v_mad_u64_u32 v[10:11], s[4:5], v1, s16, 0
	s_mov_b32 s4, 0xbb67ae85
	v_add_co_u32_e32 v31, vcc, s4, v4
	v_xor_b32_e32 v2, v31, v3
	v_xor_b32_e32 v2, v2, v6
	v_xor_b32_e32 v1, v26, v11
	v_mad_u64_u32 v[2:3], s[4:5], v2, s16, 0
	v_xor_b32_e32 v1, v1, v2
	v_mad_u64_u32 v[6:7], s[4:5], v1, s15, 0
	s_mov_b32 s4, 0x3c6ef372
	v_add_co_u32_e32 v32, vcc, s4, v14
	v_xor_b32_e32 v2, v32, v3
	;; [unrolled: 8-line block ×6, first 2 shown]
	v_add_co_u32_e32 v21, vcc, 0xdb3d7428, v4
	v_xor_b32_e32 v2, v2, v8
	v_xor_b32_e32 v1, v21, v41
	v_mad_u64_u32 v[2:3], s[4:5], v2, s15, 0
	v_xor_b32_e32 v1, v1, v2
	v_mad_u64_u32 v[8:9], s[4:5], v1, s16, 0
	s_mov_b32 s4, 0x1fd5c5a3
	v_add_co_u32_e32 v37, vcc, s4, v4
	v_xor_b32_e32 v1, v37, v3
	v_xor_b32_e32 v1, v1, v12
	v_mad_u64_u32 v[2:3], s[4:5], v1, s16, 0
	s_mov_b32 s4, 0xf1bbcdc8
	v_add_u32_e32 v19, 0x8ff34781, v14
	v_xor_b32_e32 v1, v9, v2
	v_add_co_u32_e32 v38, vcc, s4, v14
	v_xor_b32_e32 v2, v19, v1
	v_xor_b32_e32 v1, v38, v3
	v_xor_b32_e32 v1, v1, v10
	v_mad_u64_u32 v[6:7], s[4:5], v1, s15, 0
	v_add_u32_e32 v20, 0x96a522ad, v15
	v_xor_b32_e32 v1, v7, v40
	s_waitcnt lgkmcnt(0)
	v_cvt_f32_f64_e32 v5, s[0:1]
	v_xor_b32_e32 v4, v20, v1
	v_sub_f32_e32 v1, 1.0, v5
	v_add_f32_e32 v7, -1.0, v1
	v_mov_b32_e32 v3, v8
	v_sub_f32_e32 v8, v7, v1
	v_add_f32_e32 v8, 1.0, v8
	v_sub_f32_e64 v7, -v5, v7
	v_add_f32_e32 v7, v7, v8
	v_frexp_mant_f32_e32 v10, v1
	s_mov_b32 s0, 0x3f2aaaab
	v_cvt_f64_f32_e32 v[8:9], v1
	v_frexp_exp_i32_f64_e32 v8, v[8:9]
	v_cmp_gt_f32_e32 vcc, s0, v10
	v_subbrev_co_u32_e32 v39, vcc, 0, v8, vcc
	v_sub_u32_e32 v8, 0, v39
	v_ldexp_f32 v1, v1, v8
	v_ldexp_f32 v7, v7, v8
	v_add_f32_e32 v8, -1.0, v1
	v_add_f32_e32 v9, 1.0, v8
	v_sub_f32_e32 v9, v1, v9
	v_add_f32_e32 v10, v7, v9
	v_add_f32_e32 v9, 1.0, v1
	v_add_f32_e32 v11, -1.0, v9
	v_sub_f32_e32 v1, v1, v11
	v_add_f32_e32 v1, v7, v1
	v_add_f32_e32 v7, v9, v1
	v_rcp_f32_e32 v42, v7
	v_sub_f32_e32 v9, v7, v9
	v_sub_f32_e32 v1, v1, v9
	v_add_f32_e32 v9, v8, v10
	v_sub_f32_e32 v8, v9, v8
	v_mul_f32_e32 v44, v9, v42
	v_sub_f32_e32 v43, v10, v8
	v_mul_f32_e32 v10, v7, v44
	v_fma_f32 v12, v44, v7, -v10
	v_fmac_f32_e32 v12, v44, v1
	v_add_f32_e32 v8, v10, v12
	v_sub_f32_e32 v11, v9, v8
	v_pk_add_f32 v[40:41], v[8:9], v[10:11] neg_lo:[0,1] neg_hi:[0,1]
	v_mov_b32_e32 v13, v8
	v_pk_add_f32 v[8:9], v[40:41], v[12:13] neg_lo:[0,1] neg_hi:[0,1]
	v_add_f32_e32 v9, v43, v9
	v_add_f32_e32 v8, v8, v9
	v_add_f32_e32 v9, v11, v8
	v_mul_f32_e32 v43, v42, v9
	v_mul_f32_e32 v10, v7, v43
	v_fma_f32 v12, v43, v7, -v10
	v_fmac_f32_e32 v12, v43, v1
	v_sub_f32_e32 v1, v11, v9
	v_add_f32_e32 v1, v8, v1
	v_add_f32_e32 v8, v10, v12
	v_sub_f32_e32 v11, v9, v8
	v_pk_add_f32 v[40:41], v[8:9], v[10:11] neg_lo:[0,1] neg_hi:[0,1]
	v_mov_b32_e32 v13, v8
	v_pk_add_f32 v[8:9], v[40:41], v[12:13] neg_lo:[0,1] neg_hi:[0,1]
	v_add_f32_e32 v1, v1, v9
	v_add_f32_e32 v1, v8, v1
	;; [unrolled: 1-line block ×4, first 2 shown]
	v_sub_f32_e32 v8, v7, v44
	v_mul_f32_e32 v1, v42, v1
	v_sub_f32_e32 v8, v43, v8
	v_add_f32_e32 v1, v8, v1
	v_add_f32_e32 v8, v7, v1
	v_mul_f32_e32 v11, v8, v8
	v_mov_b32_e32 v10, 0x3ecc95a3
	v_fmac_f32_e32 v10, 0x3e9b6dac, v11
	v_mov_b32_e32 v9, 0x3f2aaada
	v_fmac_f32_e32 v9, v11, v10
	v_cvt_f32_i32_e32 v10, v39
	v_sub_f32_e32 v7, v8, v7
	v_ldexp_f32 v13, v8, 1
	v_mul_f32_e32 v11, v8, v11
	v_mov_b32_e32 v8, 0x3f317218
	s_mov_b32 s0, 0x3f317218
	v_pk_mul_f32 v[8:9], v[10:11], v[8:9]
	v_fma_f32 v12, v10, s0, -v8
	v_fmac_f32_e32 v12, 0xb102e308, v10
	v_pk_add_f32 v[10:11], v[8:9], v[12:13]
	v_sub_f32_e32 v1, v1, v7
	v_sub_f32_e32 v7, v11, v13
	v_ldexp_f32 v1, v1, 1
	v_sub_f32_e32 v7, v9, v7
	v_add_f32_e32 v41, v1, v7
	v_mov_b32_e32 v40, v8
	v_pk_add_f32 v[8:9], v[10:11], v[8:9] neg_lo:[0,1] neg_hi:[0,1]
	v_pk_add_f32 v[42:43], v[10:11], v[40:41]
	v_mov_b32_e32 v9, v43
	v_mov_b32_e32 v13, v10
	v_pk_add_f32 v[44:45], v[12:13], v[8:9] neg_lo:[0,1] neg_hi:[0,1]
	v_pk_add_f32 v[8:9], v[12:13], v[8:9]
	v_mov_b32_e32 v12, v9
	v_pk_add_f32 v[46:47], v[12:13], v[10:11] neg_lo:[0,1] neg_hi:[0,1]
	v_mov_b32_e32 v1, v46
	v_pk_add_f32 v[48:49], v[42:43], v[0:1] neg_lo:[0,1] neg_hi:[0,1]
	v_mov_b32_e32 v8, v43
	v_mov_b32_e32 v42, v11
	v_mov_b32_e32 v43, v46
	v_mov_b32_e32 v45, v9
	v_pk_add_f32 v[8:9], v[8:9], v[42:43] neg_lo:[0,1] neg_hi:[0,1]
	v_mov_b32_e32 v40, v41
	v_mov_b32_e32 v41, v10
	v_pk_add_f32 v[8:9], v[40:41], v[8:9] neg_lo:[0,1] neg_hi:[0,1]
	v_mov_b32_e32 v48, v44
	v_pk_add_f32 v[10:11], v[48:49], v[8:9]
	v_mov_b32_e32 v40, v11
	v_pk_add_f32 v[40:41], v[10:11], v[40:41]
	v_pk_add_f32 v[12:13], v[12:13], v[40:41]
	v_mov_b32_e32 v11, v12
	v_pk_add_f32 v[42:43], v[10:11], v[44:45] neg_lo:[0,1] neg_hi:[0,1]
	v_mov_b32_e32 v9, v40
	v_sub_f32_e32 v1, v10, v42
	v_pk_add_f32 v[8:9], v[8:9], v[42:43] neg_lo:[0,1] neg_hi:[0,1]
	v_sub_f32_e32 v1, v44, v1
	v_add_f32_e32 v1, v8, v1
	v_add_f32_e32 v1, v1, v9
	s_mov_b32 s0, 0xff800000
	v_add_f32_e32 v1, v12, v1
	v_cmp_eq_f32_e32 vcc, s0, v5
	v_cndmask_b32_e64 v1, v1, -v5, vcc
	v_mov_b32_e32 v7, 0x7fc00000
	v_cmp_nlt_f32_e32 vcc, 1.0, v5
	v_cndmask_b32_e32 v1, v7, v1, vcc
	v_mov_b32_e32 v7, 0xff800000
	v_cmp_neq_f32_e32 vcc, 1.0, v5
	s_mov_b32 s0, 0x33800000
	v_cndmask_b32_e32 v1, v7, v1, vcc
	v_log_f32_e32 v7, s0
	v_cmp_lt_f32_e64 s[0:1], |v5|, s0
	v_cndmask_b32_e64 v39, v1, -v5, s[0:1]
	s_mov_b32 s18, 0x3f317217
	v_mul_f32_e32 v1, 0x3f317217, v7
	v_fma_f32 v5, v7, s18, -v1
	v_fmac_f32_e32 v5, 0x3377d1cf, v7
	s_mov_b32 s19, 0x7f800000
	v_add_f32_e32 v1, v1, v5
	v_cmp_lt_f32_e64 vcc, |v7|, s19
	v_cndmask_b32_e32 v1, v7, v1, vcc
	v_div_scale_f32 v7, s[0:1], v39, v39, v1
	v_rcp_f32_e32 v8, v7
	v_mov_b32_e32 v5, v6
	s_mul_i32 s0, s6, s7
	s_mov_b32 s14, 0
	v_fma_f32 v6, -v7, v8, 1.0
	v_fmac_f32_e32 v8, v6, v8
	v_div_scale_f32 v6, vcc, v1, v39, v1
	v_mul_f32_e32 v9, v6, v8
	v_fma_f32 v10, -v7, v9, v6
	v_fmac_f32_e32 v9, v10, v8
	v_fma_f32 v6, -v7, v9, v6
	v_div_fmas_f32 v6, v6, v8, v9
	v_div_fixup_f32 v1, v6, v39, v1
	v_ceil_f32_e32 v1, v1
	v_bfe_u32 v6, v1, 16, 1
	v_add_u32_e32 v6, v1, v6
	v_cmp_o_f32_e32 vcc, v1, v1
	v_add_u32_e32 v1, s0, v0
	s_mul_i32 s0, s17, s26
	s_mul_i32 s0, s0, s7
	s_lshl_b32 s25, s0, 2
	s_mul_i32 s0, s17, 3
	s_add_i32 s0, s6, s0
	s_mul_i32 s0, s0, s7
	v_mul_lo_u32 v42, s26, v1
	v_add_u32_e32 v1, s0, v0
	s_lshl_b32 s0, s17, 1
	s_add_i32 s0, s6, s0
	s_mul_i32 s0, s0, s7
	v_mul_lo_u32 v43, s26, v1
	v_add_u32_e32 v1, s0, v0
	s_add_i32 s0, s6, s17
	v_add_u32_e32 v6, 0x7fff, v6
	s_mul_i32 s0, s0, s7
	v_lshrrev_b32_e32 v6, 16, v6
	v_mov_b32_e32 v40, 0x7fc0
	v_add_u32_e32 v0, s0, v0
	s_lshl_b32 s20, s12, 1
	s_mov_b32 s21, s14
	s_movk_i32 s22, 0x7fff
	v_cndmask_b32_e32 v41, v40, v6, vcc
	s_mul_i32 s23, s12, 3
	s_mov_b32 s24, s14
	v_mul_lo_u32 v44, s26, v1
	v_mul_lo_u32 v45, s26, v0
	s_mov_b64 s[4:5], 0
	s_mov_b32 s17, 0x800000
	v_mov_b32_e32 v46, 0x4f800000
	v_mov_b32_e32 v47, 0x41b17218
	s_mov_b32 s26, s14
	v_mov_b32_e32 v48, v16
	v_mov_b32_e32 v49, v17
	s_branch .LBB32_8
.LBB32_7:                               ;   in Loop: Header=BB32_8 Depth=1
	s_or_b64 exec, exec, s[0:1]
	v_add_co_u32_e32 v16, vcc, s13, v16
	v_addc_co_u32_e32 v17, vcc, 0, v17, vcc
	v_mov_b32_e32 v9, v0
	s_add_i32 s26, s26, s25
	v_cmp_le_i64_e32 vcc, s[2:3], v[16:17]
	v_pk_mov_b32 v[2:3], v[6:7], v[6:7] op_sel:[0,1]
	s_or_b64 s[4:5], vcc, s[4:5]
	v_pk_mov_b32 v[4:5], v[8:9], v[8:9] op_sel:[0,1]
	s_barrier
	s_andn2_b64 exec, exec, s[4:5]
	s_cbranch_execz .LBB32_26
.LBB32_8:                               ; =>This Inner Loop Header: Depth=1
	v_add_co_u32_e32 v29, vcc, 1, v29
	v_cndmask_b32_e64 v0, 0, 1, vcc
	v_addc_co_u32_e32 v30, vcc, 0, v30, vcc
	v_cmp_eq_u32_e32 vcc, 0, v30
	v_cndmask_b32_e32 v0, 0, v0, vcc
	v_add_u32_e32 v48, v0, v48
	v_cmp_eq_u32_e32 vcc, 0, v48
	v_cndmask_b32_e32 v0, 0, v0, vcc
	v_add_u32_e32 v49, v0, v49
	v_mad_u64_u32 v[0:1], s[0:1], v29, s15, 0
	v_mad_u64_u32 v[6:7], s[0:1], v48, s16, 0
	v_xor_b32_e32 v1, v1, v15
	v_xor_b32_e32 v7, v7, v14
	v_xor_b32_e32 v1, v49, v1
	v_xor_b32_e32 v7, v30, v7
	v_mad_u64_u32 v[10:11], s[0:1], v1, s16, 0
	v_mad_u64_u32 v[8:9], s[0:1], v7, s15, 0
	v_xor_b32_e32 v1, v28, v11
	v_xor_b32_e32 v1, v1, v6
	v_xor_b32_e32 v6, v31, v9
	v_xor_b32_e32 v6, v6, v0
	;; [unrolled: 6-line block ×10, first 2 shown]
	v_mov_b32_e32 v7, v12
	v_mov_b32_e32 v8, v13
	v_cmp_lt_i32_e32 vcc, 1, v18
	s_and_saveexec_b64 s[0:1], vcc
	s_xor_b64 s[0:1], exec, s[0:1]
	s_cbranch_execnz .LBB32_18
; %bb.9:                                ;   in Loop: Header=BB32_8 Depth=1
	s_andn2_saveexec_b64 s[0:1], s[0:1]
	s_cbranch_execnz .LBB32_23
.LBB32_10:                              ;   in Loop: Header=BB32_8 Depth=1
	s_or_b64 exec, exec, s[0:1]
	v_cmp_gt_i64_e32 vcc, s[8:9], v[16:17]
	s_and_saveexec_b64 s[6:7], vcc
	s_cbranch_execz .LBB32_12
.LBB32_11:                              ;   in Loop: Header=BB32_8 Depth=1
	v_lshrrev_b32_e32 v1, 11, v3
	v_cvt_f64_u32_e32 v[10:11], v1
	v_ldexp_f64 v[10:11], v[10:11], 32
	v_cvt_f64_u32_e32 v[2:3], v2
	v_add_f64 v[2:3], v[10:11], v[2:3]
	v_mov_b32_e32 v10, 0
	v_mov_b32_e32 v11, 0x3ca00000
	v_fmac_f64_e32 v[10:11], 0x3ca00000, v[2:3]
	v_cvt_f32_f64_e32 v1, v[10:11]
	v_cmp_gt_f32_e32 vcc, s17, v1
	v_cndmask_b32_e32 v2, 1.0, v46, vcc
	v_mul_f32_e32 v1, v1, v2
	v_log_f32_e32 v1, v1
	v_add_u32_e32 v2, s26, v42
	v_ashrrev_i32_e32 v3, 31, v2
	v_mov_b32_e32 v9, s11
	v_mul_f32_e32 v10, 0x3f317217, v1
	v_fma_f32 v11, v1, s18, -v10
	v_fmac_f32_e32 v11, 0x3377d1cf, v1
	v_add_f32_e32 v10, v10, v11
	v_cmp_lt_f32_e64 s[0:1], |v1|, s19
	v_cndmask_b32_e64 v1, v1, v10, s[0:1]
	v_cndmask_b32_e32 v10, 0, v47, vcc
	v_sub_f32_e32 v1, v1, v10
	v_div_scale_f32 v10, s[0:1], v39, v39, v1
	v_rcp_f32_e32 v11, v10
	v_add_co_u32_e32 v2, vcc, s10, v2
	v_addc_co_u32_e32 v3, vcc, v9, v3, vcc
	v_fma_f32 v9, -v10, v11, 1.0
	v_fmac_f32_e32 v11, v9, v11
	v_div_scale_f32 v9, vcc, v1, v39, v1
	v_mul_f32_e32 v12, v9, v11
	v_fma_f32 v13, -v10, v12, v9
	v_fmac_f32_e32 v12, v13, v11
	v_fma_f32 v9, -v10, v12, v9
	v_div_fmas_f32 v9, v9, v11, v12
	v_div_fixup_f32 v1, v9, v39, v1
	v_ceil_f32_e32 v1, v1
	v_bfe_u32 v9, v1, 16, 1
	v_add3_u32 v9, v1, v9, s22
	v_lshrrev_b32_e32 v9, 16, v9
	v_cmp_o_f32_e32 vcc, v1, v1
	v_cndmask_b32_e32 v1, v40, v9, vcc
	global_store_short v[2:3], v1, off
.LBB32_12:                              ;   in Loop: Header=BB32_8 Depth=1
	s_or_b64 exec, exec, s[6:7]
	v_mov_b32_e32 v1, s14
	v_add_co_u32_e32 v2, vcc, s12, v16
	v_addc_co_u32_e32 v3, vcc, v1, v17, vcc
	v_cmp_gt_i64_e32 vcc, s[8:9], v[2:3]
	s_and_saveexec_b64 s[6:7], vcc
	s_cbranch_execz .LBB32_14
; %bb.13:                               ;   in Loop: Header=BB32_8 Depth=1
	v_lshrrev_b32_e32 v1, 11, v5
	v_cvt_f64_u32_e32 v[2:3], v1
	v_ldexp_f64 v[2:3], v[2:3], 32
	v_cvt_f64_u32_e32 v[4:5], v4
	v_add_f64 v[2:3], v[2:3], v[4:5]
	v_mov_b32_e32 v4, 0
	v_mov_b32_e32 v5, 0x3ca00000
	v_fmac_f64_e32 v[4:5], 0x3ca00000, v[2:3]
	v_cvt_f32_f64_e32 v1, v[4:5]
	v_cmp_gt_f32_e32 vcc, s17, v1
	v_cndmask_b32_e32 v2, 1.0, v46, vcc
	v_mul_f32_e32 v1, v1, v2
	v_log_f32_e32 v1, v1
	v_add_u32_e32 v2, s26, v45
	v_ashrrev_i32_e32 v3, 31, v2
	v_mov_b32_e32 v4, s11
	v_mul_f32_e32 v5, 0x3f317217, v1
	v_fma_f32 v9, v1, s18, -v5
	v_fmac_f32_e32 v9, 0x3377d1cf, v1
	v_add_f32_e32 v5, v5, v9
	v_cmp_lt_f32_e64 s[0:1], |v1|, s19
	v_cndmask_b32_e64 v1, v1, v5, s[0:1]
	v_cndmask_b32_e32 v5, 0, v47, vcc
	v_sub_f32_e32 v1, v1, v5
	v_div_scale_f32 v5, s[0:1], v39, v39, v1
	v_rcp_f32_e32 v9, v5
	v_add_co_u32_e32 v2, vcc, s10, v2
	v_addc_co_u32_e32 v3, vcc, v4, v3, vcc
	v_fma_f32 v4, -v5, v9, 1.0
	v_fmac_f32_e32 v9, v4, v9
	v_div_scale_f32 v4, vcc, v1, v39, v1
	v_mul_f32_e32 v10, v4, v9
	v_fma_f32 v11, -v5, v10, v4
	v_fmac_f32_e32 v10, v11, v9
	v_fma_f32 v4, -v5, v10, v4
	v_div_fmas_f32 v4, v4, v9, v10
	v_div_fixup_f32 v1, v4, v39, v1
	v_ceil_f32_e32 v1, v1
	v_bfe_u32 v4, v1, 16, 1
	v_add3_u32 v4, v1, v4, s22
	v_lshrrev_b32_e32 v4, 16, v4
	v_cmp_o_f32_e32 vcc, v1, v1
	v_cndmask_b32_e32 v1, v40, v4, vcc
	global_store_short v[2:3], v1, off
.LBB32_14:                              ;   in Loop: Header=BB32_8 Depth=1
	s_or_b64 exec, exec, s[6:7]
	v_mov_b32_e32 v1, s21
	v_add_co_u32_e32 v2, vcc, s20, v16
	v_addc_co_u32_e32 v3, vcc, v1, v17, vcc
	v_cmp_gt_i64_e32 vcc, s[8:9], v[2:3]
	s_and_saveexec_b64 s[0:1], vcc
	s_cbranch_execz .LBB32_16
; %bb.15:                               ;   in Loop: Header=BB32_8 Depth=1
	v_add_u32_e32 v1, s26, v44
	v_ashrrev_i32_e32 v3, 31, v1
	v_mov_b32_e32 v4, s11
	v_add_co_u32_e32 v2, vcc, s10, v1
	v_addc_co_u32_e32 v3, vcc, v4, v3, vcc
	global_store_short v[2:3], v41, off
.LBB32_16:                              ;   in Loop: Header=BB32_8 Depth=1
	s_or_b64 exec, exec, s[0:1]
	v_mov_b32_e32 v1, s24
	v_add_co_u32_e32 v2, vcc, s23, v16
	v_addc_co_u32_e32 v3, vcc, v1, v17, vcc
	v_cmp_gt_i64_e32 vcc, s[8:9], v[2:3]
	s_and_saveexec_b64 s[0:1], vcc
	s_cbranch_execz .LBB32_7
; %bb.17:                               ;   in Loop: Header=BB32_8 Depth=1
	v_add_u32_e32 v1, s26, v43
	v_ashrrev_i32_e32 v3, 31, v1
	v_mov_b32_e32 v4, s11
	v_add_co_u32_e32 v2, vcc, s10, v1
	v_addc_co_u32_e32 v3, vcc, v4, v3, vcc
	global_store_short v[2:3], v41, off
	s_branch .LBB32_7
.LBB32_18:                              ;   in Loop: Header=BB32_8 Depth=1
	v_cmp_lt_i32_e32 vcc, 2, v18
	s_and_saveexec_b64 s[6:7], vcc
	s_xor_b64 s[6:7], exec, s[6:7]
; %bb.19:                               ;   in Loop: Header=BB32_8 Depth=1
	v_mov_b32_e32 v10, v5
	v_mov_b32_e32 v11, v6
	v_pk_mov_b32 v[2:3], v[10:11], v[10:11] op_sel:[0,1]
	v_pk_mov_b32 v[4:5], v[12:13], v[12:13] op_sel:[0,1]
                                        ; implicit-def: $vgpr12_vgpr13
; %bb.20:                               ;   in Loop: Header=BB32_8 Depth=1
	s_andn2_saveexec_b64 s[6:7], s[6:7]
; %bb.21:                               ;   in Loop: Header=BB32_8 Depth=1
	v_mov_b32_e32 v2, v4
	v_mov_b32_e32 v3, v5
	;; [unrolled: 1-line block ×4, first 2 shown]
; %bb.22:                               ;   in Loop: Header=BB32_8 Depth=1
	s_or_b64 exec, exec, s[6:7]
	s_andn2_saveexec_b64 s[0:1], s[0:1]
	s_cbranch_execz .LBB32_10
.LBB32_23:                              ;   in Loop: Header=BB32_8 Depth=1
	v_cmp_eq_u32_e32 vcc, 1, v18
	s_and_saveexec_b64 s[6:7], vcc
; %bb.24:                               ;   in Loop: Header=BB32_8 Depth=1
	v_mov_b32_e32 v2, v3
	v_mov_b32_e32 v3, v4
	;; [unrolled: 1-line block ×4, first 2 shown]
; %bb.25:                               ;   in Loop: Header=BB32_8 Depth=1
	s_or_b64 exec, exec, s[6:7]
	s_or_b64 exec, exec, s[0:1]
	v_cmp_gt_i64_e32 vcc, s[8:9], v[16:17]
	s_and_saveexec_b64 s[6:7], vcc
	s_cbranch_execnz .LBB32_11
	s_branch .LBB32_12
.LBB32_26:
	s_endpgm
.LBB32_27:
                                        ; implicit-def: $sgpr2_sgpr3
	s_andn2_b64 vcc, exec, s[0:1]
	s_cbranch_vccz .LBB32_4
	s_branch .LBB32_5
	.section	.rodata,"a",@progbits
	.p2align	6, 0x0
	.amdhsa_kernel _ZN2at6native12_GLOBAL__N_143distribution_elementwise_grid_stride_kernelIfLi4EZNS0_9templates4cuda21uniform_and_transformIN3c108BFloat16EfPNS_17CUDAGeneratorImplEZZZNS4_16geometric_kernelIS9_EEvRNS_18TensorIteratorBaseEdT_ENKUlvE_clEvENKUlvE7_clEvEUlfE_EEvSC_T1_T2_EUlP25hiprandStatePhilox4_32_10E_ZNS1_27distribution_nullary_kernelIS7_f15HIP_vector_typeIdLj2EES9_SL_SG_EEvSC_SI_RKT3_T4_EUlifE_EEvlNS_15PhiloxCudaStateESH_SI_
		.amdhsa_group_segment_fixed_size 0
		.amdhsa_private_segment_fixed_size 0
		.amdhsa_kernarg_size 328
		.amdhsa_user_sgpr_count 6
		.amdhsa_user_sgpr_private_segment_buffer 1
		.amdhsa_user_sgpr_dispatch_ptr 0
		.amdhsa_user_sgpr_queue_ptr 0
		.amdhsa_user_sgpr_kernarg_segment_ptr 1
		.amdhsa_user_sgpr_dispatch_id 0
		.amdhsa_user_sgpr_flat_scratch_init 0
		.amdhsa_user_sgpr_kernarg_preload_length 0
		.amdhsa_user_sgpr_kernarg_preload_offset 0
		.amdhsa_user_sgpr_private_segment_size 0
		.amdhsa_uses_dynamic_stack 0
		.amdhsa_system_sgpr_private_segment_wavefront_offset 0
		.amdhsa_system_sgpr_workgroup_id_x 1
		.amdhsa_system_sgpr_workgroup_id_y 0
		.amdhsa_system_sgpr_workgroup_id_z 0
		.amdhsa_system_sgpr_workgroup_info 0
		.amdhsa_system_vgpr_workitem_id 0
		.amdhsa_next_free_vgpr 52
		.amdhsa_next_free_sgpr 27
		.amdhsa_accum_offset 52
		.amdhsa_reserve_vcc 1
		.amdhsa_reserve_flat_scratch 0
		.amdhsa_float_round_mode_32 0
		.amdhsa_float_round_mode_16_64 0
		.amdhsa_float_denorm_mode_32 3
		.amdhsa_float_denorm_mode_16_64 3
		.amdhsa_dx10_clamp 1
		.amdhsa_ieee_mode 1
		.amdhsa_fp16_overflow 0
		.amdhsa_tg_split 0
		.amdhsa_exception_fp_ieee_invalid_op 0
		.amdhsa_exception_fp_denorm_src 0
		.amdhsa_exception_fp_ieee_div_zero 0
		.amdhsa_exception_fp_ieee_overflow 0
		.amdhsa_exception_fp_ieee_underflow 0
		.amdhsa_exception_fp_ieee_inexact 0
		.amdhsa_exception_int_div_zero 0
	.end_amdhsa_kernel
	.section	.text._ZN2at6native12_GLOBAL__N_143distribution_elementwise_grid_stride_kernelIfLi4EZNS0_9templates4cuda21uniform_and_transformIN3c108BFloat16EfPNS_17CUDAGeneratorImplEZZZNS4_16geometric_kernelIS9_EEvRNS_18TensorIteratorBaseEdT_ENKUlvE_clEvENKUlvE7_clEvEUlfE_EEvSC_T1_T2_EUlP25hiprandStatePhilox4_32_10E_ZNS1_27distribution_nullary_kernelIS7_f15HIP_vector_typeIdLj2EES9_SL_SG_EEvSC_SI_RKT3_T4_EUlifE_EEvlNS_15PhiloxCudaStateESH_SI_,"axG",@progbits,_ZN2at6native12_GLOBAL__N_143distribution_elementwise_grid_stride_kernelIfLi4EZNS0_9templates4cuda21uniform_and_transformIN3c108BFloat16EfPNS_17CUDAGeneratorImplEZZZNS4_16geometric_kernelIS9_EEvRNS_18TensorIteratorBaseEdT_ENKUlvE_clEvENKUlvE7_clEvEUlfE_EEvSC_T1_T2_EUlP25hiprandStatePhilox4_32_10E_ZNS1_27distribution_nullary_kernelIS7_f15HIP_vector_typeIdLj2EES9_SL_SG_EEvSC_SI_RKT3_T4_EUlifE_EEvlNS_15PhiloxCudaStateESH_SI_,comdat
.Lfunc_end32:
	.size	_ZN2at6native12_GLOBAL__N_143distribution_elementwise_grid_stride_kernelIfLi4EZNS0_9templates4cuda21uniform_and_transformIN3c108BFloat16EfPNS_17CUDAGeneratorImplEZZZNS4_16geometric_kernelIS9_EEvRNS_18TensorIteratorBaseEdT_ENKUlvE_clEvENKUlvE7_clEvEUlfE_EEvSC_T1_T2_EUlP25hiprandStatePhilox4_32_10E_ZNS1_27distribution_nullary_kernelIS7_f15HIP_vector_typeIdLj2EES9_SL_SG_EEvSC_SI_RKT3_T4_EUlifE_EEvlNS_15PhiloxCudaStateESH_SI_, .Lfunc_end32-_ZN2at6native12_GLOBAL__N_143distribution_elementwise_grid_stride_kernelIfLi4EZNS0_9templates4cuda21uniform_and_transformIN3c108BFloat16EfPNS_17CUDAGeneratorImplEZZZNS4_16geometric_kernelIS9_EEvRNS_18TensorIteratorBaseEdT_ENKUlvE_clEvENKUlvE7_clEvEUlfE_EEvSC_T1_T2_EUlP25hiprandStatePhilox4_32_10E_ZNS1_27distribution_nullary_kernelIS7_f15HIP_vector_typeIdLj2EES9_SL_SG_EEvSC_SI_RKT3_T4_EUlifE_EEvlNS_15PhiloxCudaStateESH_SI_
                                        ; -- End function
	.section	.AMDGPU.csdata,"",@progbits
; Kernel info:
; codeLenInByte = 3672
; NumSgprs: 31
; NumVgprs: 52
; NumAgprs: 0
; TotalNumVgprs: 52
; ScratchSize: 0
; MemoryBound: 0
; FloatMode: 240
; IeeeMode: 1
; LDSByteSize: 0 bytes/workgroup (compile time only)
; SGPRBlocks: 3
; VGPRBlocks: 6
; NumSGPRsForWavesPerEU: 31
; NumVGPRsForWavesPerEU: 52
; AccumOffset: 52
; Occupancy: 8
; WaveLimiterHint : 0
; COMPUTE_PGM_RSRC2:SCRATCH_EN: 0
; COMPUTE_PGM_RSRC2:USER_SGPR: 6
; COMPUTE_PGM_RSRC2:TRAP_HANDLER: 0
; COMPUTE_PGM_RSRC2:TGID_X_EN: 1
; COMPUTE_PGM_RSRC2:TGID_Y_EN: 0
; COMPUTE_PGM_RSRC2:TGID_Z_EN: 0
; COMPUTE_PGM_RSRC2:TIDIG_COMP_CNT: 0
; COMPUTE_PGM_RSRC3_GFX90A:ACCUM_OFFSET: 12
; COMPUTE_PGM_RSRC3_GFX90A:TG_SPLIT: 0
	.section	.text._ZN2at6native12_GLOBAL__N_143distribution_elementwise_grid_stride_kernelIfLi4EZNS0_9templates4cuda21uniform_and_transformIN3c108BFloat16EfPNS_17CUDAGeneratorImplEZZZNS4_16geometric_kernelIS9_EEvRNS_18TensorIteratorBaseEdT_ENKUlvE_clEvENKUlvE7_clEvEUlfE_EEvSC_T1_T2_EUlP25hiprandStatePhilox4_32_10E_ZNS1_27distribution_nullary_kernelIS7_f15HIP_vector_typeIdLj2EES9_SL_SG_EEvSC_SI_RKT3_T4_EUlifE0_EEvlNS_15PhiloxCudaStateESH_SI_,"axG",@progbits,_ZN2at6native12_GLOBAL__N_143distribution_elementwise_grid_stride_kernelIfLi4EZNS0_9templates4cuda21uniform_and_transformIN3c108BFloat16EfPNS_17CUDAGeneratorImplEZZZNS4_16geometric_kernelIS9_EEvRNS_18TensorIteratorBaseEdT_ENKUlvE_clEvENKUlvE7_clEvEUlfE_EEvSC_T1_T2_EUlP25hiprandStatePhilox4_32_10E_ZNS1_27distribution_nullary_kernelIS7_f15HIP_vector_typeIdLj2EES9_SL_SG_EEvSC_SI_RKT3_T4_EUlifE0_EEvlNS_15PhiloxCudaStateESH_SI_,comdat
	.globl	_ZN2at6native12_GLOBAL__N_143distribution_elementwise_grid_stride_kernelIfLi4EZNS0_9templates4cuda21uniform_and_transformIN3c108BFloat16EfPNS_17CUDAGeneratorImplEZZZNS4_16geometric_kernelIS9_EEvRNS_18TensorIteratorBaseEdT_ENKUlvE_clEvENKUlvE7_clEvEUlfE_EEvSC_T1_T2_EUlP25hiprandStatePhilox4_32_10E_ZNS1_27distribution_nullary_kernelIS7_f15HIP_vector_typeIdLj2EES9_SL_SG_EEvSC_SI_RKT3_T4_EUlifE0_EEvlNS_15PhiloxCudaStateESH_SI_ ; -- Begin function _ZN2at6native12_GLOBAL__N_143distribution_elementwise_grid_stride_kernelIfLi4EZNS0_9templates4cuda21uniform_and_transformIN3c108BFloat16EfPNS_17CUDAGeneratorImplEZZZNS4_16geometric_kernelIS9_EEvRNS_18TensorIteratorBaseEdT_ENKUlvE_clEvENKUlvE7_clEvEUlfE_EEvSC_T1_T2_EUlP25hiprandStatePhilox4_32_10E_ZNS1_27distribution_nullary_kernelIS7_f15HIP_vector_typeIdLj2EES9_SL_SG_EEvSC_SI_RKT3_T4_EUlifE0_EEvlNS_15PhiloxCudaStateESH_SI_
	.p2align	8
	.type	_ZN2at6native12_GLOBAL__N_143distribution_elementwise_grid_stride_kernelIfLi4EZNS0_9templates4cuda21uniform_and_transformIN3c108BFloat16EfPNS_17CUDAGeneratorImplEZZZNS4_16geometric_kernelIS9_EEvRNS_18TensorIteratorBaseEdT_ENKUlvE_clEvENKUlvE7_clEvEUlfE_EEvSC_T1_T2_EUlP25hiprandStatePhilox4_32_10E_ZNS1_27distribution_nullary_kernelIS7_f15HIP_vector_typeIdLj2EES9_SL_SG_EEvSC_SI_RKT3_T4_EUlifE0_EEvlNS_15PhiloxCudaStateESH_SI_,@function
_ZN2at6native12_GLOBAL__N_143distribution_elementwise_grid_stride_kernelIfLi4EZNS0_9templates4cuda21uniform_and_transformIN3c108BFloat16EfPNS_17CUDAGeneratorImplEZZZNS4_16geometric_kernelIS9_EEvRNS_18TensorIteratorBaseEdT_ENKUlvE_clEvENKUlvE7_clEvEUlfE_EEvSC_T1_T2_EUlP25hiprandStatePhilox4_32_10E_ZNS1_27distribution_nullary_kernelIS7_f15HIP_vector_typeIdLj2EES9_SL_SG_EEvSC_SI_RKT3_T4_EUlifE0_EEvlNS_15PhiloxCudaStateESH_SI_: ; @_ZN2at6native12_GLOBAL__N_143distribution_elementwise_grid_stride_kernelIfLi4EZNS0_9templates4cuda21uniform_and_transformIN3c108BFloat16EfPNS_17CUDAGeneratorImplEZZZNS4_16geometric_kernelIS9_EEvRNS_18TensorIteratorBaseEdT_ENKUlvE_clEvENKUlvE7_clEvEUlfE_EEvSC_T1_T2_EUlP25hiprandStatePhilox4_32_10E_ZNS1_27distribution_nullary_kernelIS7_f15HIP_vector_typeIdLj2EES9_SL_SG_EEvSC_SI_RKT3_T4_EUlifE0_EEvlNS_15PhiloxCudaStateESH_SI_
; %bb.0:
	s_load_dword s2, s[4:5], 0x20
	s_load_dwordx2 s[0:1], s[4:5], 0x10
	s_load_dwordx4 s[24:27], s[4:5], 0x0
	s_waitcnt lgkmcnt(0)
	s_bitcmp0_b32 s2, 0
	s_mov_b32 s2, 0
	v_pk_mov_b32 v[2:3], s[0:1], s[0:1] op_sel:[0,1]
	v_pk_mov_b32 v[10:11], s[26:27], s[26:27] op_sel:[0,1]
	s_cbranch_scc1 .LBB33_2
; %bb.1:
	v_pk_mov_b32 v[2:3], s[0:1], s[0:1] op_sel:[0,1]
	flat_load_dwordx2 v[2:3], v[2:3]
	v_pk_mov_b32 v[4:5], s[26:27], s[26:27] op_sel:[0,1]
	flat_load_dwordx2 v[10:11], v[4:5]
	s_load_dwordx2 s[0:1], s[4:5], 0x18
	s_waitcnt lgkmcnt(0)
	v_mov_b32_e32 v1, s1
	s_waitcnt vmcnt(0)
	v_add_co_u32_e32 v2, vcc, s0, v2
	v_addc_co_u32_e32 v3, vcc, v3, v1, vcc
.LBB33_2:
	s_load_dword s0, s[4:5], 0x154
	s_load_dword s7, s[4:5], 0x148
	s_waitcnt lgkmcnt(0)
	s_and_b32 s8, s0, 0xffff
	s_add_u32 s9, s24, -1
	s_mul_i32 s33, s7, s8
	s_addc_u32 s3, s25, -1
	s_lshl_b32 s58, s33, 2
	s_cmp_lg_u64 s[2:3], 0
	s_mov_b64 s[0:1], -1
	s_cbranch_scc0 .LBB33_83
; %bb.3:
	v_cvt_f32_u32_e32 v1, s58
	v_cvt_f32_ubyte0_e32 v4, 0
	s_sub_u32 s2, 0, s58
	s_subb_u32 s10, 0, 0
	v_madmk_f32 v1, v4, 0x4f800000, v1
	v_rcp_f32_e32 v1, v1
	v_mul_f32_e32 v1, 0x5f7ffffc, v1
	v_mul_f32_e32 v4, 0x2f800000, v1
	v_trunc_f32_e32 v4, v4
	v_madmk_f32 v1, v4, 0xcf800000, v1
	v_cvt_u32_f32_e32 v4, v4
	v_cvt_u32_f32_e32 v1, v1
	v_readfirstlane_b32 s11, v4
	v_readfirstlane_b32 s12, v1
	s_mul_i32 s13, s2, s11
	s_mul_hi_u32 s15, s2, s12
	s_mul_i32 s14, s10, s12
	s_add_i32 s13, s15, s13
	s_add_i32 s13, s13, s14
	s_mul_i32 s16, s2, s12
	s_mul_hi_u32 s14, s12, s13
	s_mul_i32 s15, s12, s13
	s_mul_hi_u32 s12, s12, s16
	s_add_u32 s12, s12, s15
	s_addc_u32 s14, 0, s14
	s_mul_hi_u32 s17, s11, s16
	s_mul_i32 s16, s11, s16
	s_add_u32 s12, s12, s16
	s_mul_hi_u32 s15, s11, s13
	s_addc_u32 s12, s14, s17
	s_addc_u32 s14, s15, 0
	s_mul_i32 s13, s11, s13
	s_add_u32 s12, s12, s13
	s_addc_u32 s13, 0, s14
	v_add_co_u32_e32 v1, vcc, s12, v1
	s_cmp_lg_u64 vcc, 0
	s_addc_u32 s11, s11, s13
	v_readfirstlane_b32 s13, v1
	s_mul_i32 s12, s2, s11
	s_mul_hi_u32 s14, s2, s13
	s_add_i32 s12, s14, s12
	s_mul_i32 s10, s10, s13
	s_add_i32 s12, s12, s10
	s_mul_i32 s2, s2, s13
	s_mul_hi_u32 s14, s11, s2
	s_mul_i32 s15, s11, s2
	s_mul_i32 s17, s13, s12
	s_mul_hi_u32 s2, s13, s2
	s_mul_hi_u32 s16, s13, s12
	s_add_u32 s2, s2, s17
	s_addc_u32 s13, 0, s16
	s_add_u32 s2, s2, s15
	s_mul_hi_u32 s10, s11, s12
	s_addc_u32 s2, s13, s14
	s_addc_u32 s10, s10, 0
	s_mul_i32 s12, s11, s12
	s_add_u32 s2, s2, s12
	s_addc_u32 s10, 0, s10
	v_add_co_u32_e32 v1, vcc, s2, v1
	s_cmp_lg_u64 vcc, 0
	s_addc_u32 s12, s11, s10
	s_ashr_i32 s10, s3, 31
	s_add_u32 s2, s9, s10
	s_mov_b32 s11, s10
	s_addc_u32 s3, s3, s10
	s_xor_b64 s[2:3], s[2:3], s[10:11]
	v_readfirstlane_b32 s15, v1
	s_mul_i32 s14, s2, s12
	s_mul_hi_u32 s16, s2, s15
	s_mul_hi_u32 s13, s2, s12
	s_add_u32 s14, s16, s14
	s_addc_u32 s13, 0, s13
	s_mul_hi_u32 s17, s3, s15
	s_mul_i32 s15, s3, s15
	s_add_u32 s14, s14, s15
	s_mul_hi_u32 s16, s3, s12
	s_addc_u32 s13, s13, s17
	s_addc_u32 s14, s16, 0
	s_mul_i32 s12, s3, s12
	s_add_u32 s12, s13, s12
	s_addc_u32 s13, 0, s14
	s_add_u32 s14, s12, 1
	s_addc_u32 s15, s13, 0
	s_add_u32 s16, s12, 2
	s_mul_i32 s18, s58, s13
	s_mul_hi_u32 s19, s58, s12
	s_addc_u32 s17, s13, 0
	s_add_i32 s19, s19, s18
	s_mul_i32 s18, s58, s12
	v_mov_b32_e32 v1, s18
	v_sub_co_u32_e32 v1, vcc, s2, v1
	s_cmp_lg_u64 vcc, 0
	s_subb_u32 s2, s3, s19
	v_subrev_co_u32_e32 v4, vcc, s58, v1
	s_cmp_lg_u64 vcc, 0
	s_subb_u32 s3, s2, 0
	v_readfirstlane_b32 s18, v4
	s_cmp_ge_u32 s18, s58
	s_cselect_b32 s18, -1, 0
	s_cmp_eq_u32 s3, 0
	s_cselect_b32 s3, s18, -1
	s_cmp_lg_u32 s3, 0
	s_cselect_b32 s3, s17, s15
	v_readfirstlane_b32 s15, v1
	s_cselect_b32 s14, s16, s14
	s_cmp_ge_u32 s15, s58
	s_cselect_b32 s15, -1, 0
	s_cmp_eq_u32 s2, 0
	s_cselect_b32 s2, s15, -1
	s_cmp_lg_u32 s2, 0
	s_cselect_b32 s3, s3, s13
	s_cselect_b32 s2, s14, s12
	s_xor_b64 s[2:3], s[2:3], s[10:11]
	s_sub_u32 s2, s2, s10
	s_subb_u32 s3, s3, s10
	s_cbranch_execnz .LBB33_5
.LBB33_4:
	v_cvt_f32_u32_e32 v1, s58
	s_sub_i32 s0, 0, s58
	s_mov_b32 s3, 0
	v_rcp_iflag_f32_e32 v1, v1
	v_mul_f32_e32 v1, 0x4f7ffffe, v1
	v_cvt_u32_f32_e32 v1, v1
	v_readfirstlane_b32 s1, v1
	s_mul_i32 s0, s0, s1
	s_mul_hi_u32 s0, s1, s0
	s_add_i32 s1, s1, s0
	s_mul_hi_u32 s0, s9, s1
	s_mul_i32 s2, s0, s58
	s_sub_i32 s2, s9, s2
	s_add_i32 s1, s0, 1
	s_sub_i32 s9, s2, s58
	s_cmp_ge_u32 s2, s58
	s_cselect_b32 s0, s1, s0
	s_cselect_b32 s2, s9, s2
	s_add_i32 s1, s0, 1
	s_cmp_ge_u32 s2, s58
	s_cselect_b32 s2, s1, s0
.LBB33_5:
	v_mov_b32_e32 v1, 0
	v_mov_b32_e32 v4, s6
	v_mad_u64_u32 v[12:13], s[0:1], s8, v4, v[0:1]
	s_add_u32 s0, s2, 1
	s_addc_u32 s1, s3, 0
	s_mul_hi_u32 s2, s7, s8
	s_mul_i32 s1, s33, s1
	s_mul_hi_u32 s3, s33, s0
	s_add_i32 s1, s3, s1
	s_mul_i32 s2, s2, s0
	s_add_i32 s1, s1, s2
	s_mul_i32 s0, s33, s0
	s_lshl_b64 s[26:27], s[0:1], 2
	v_cmp_gt_i64_e32 vcc, s[26:27], v[12:13]
	s_and_saveexec_b64 s[0:1], vcc
	s_cbranch_execz .LBB33_82
; %bb.6:
	s_mov_b32 s0, 0x5384540f
	v_mov_b32_e32 v0, v11
	v_add_co_u32_e32 v20, vcc, s0, v10
	s_mov_b32 s0, 0x646e171e
	v_add_co_u32_e32 v21, vcc, s0, v0
	s_mov_b32 s0, 0x1715609d
	;; [unrolled: 2-line block ×6, first 2 shown]
	v_alignbit_b32 v27, v3, v2, 2
	s_mov_b32 s60, 0xd2511f53
	v_add_co_u32_e32 v26, vcc, s0, v10
	v_mad_u64_u32 v[4:5], s[0:1], v27, s60, 0
	v_xor_b32_e32 v1, v5, v11
	v_xor_b32_e32 v1, v1, v13
	s_mov_b32 s61, 0xcd9e8d57
	v_mad_u64_u32 v[6:7], s[0:1], v1, s61, 0
	v_xor_b32_e32 v1, v26, v7
	v_mad_u64_u32 v[8:9], s[0:1], v12, s61, 0
	v_and_b32_e32 v16, 3, v2
	v_xor_b32_e32 v1, v1, v8
	v_xor_b32_e32 v2, v10, v9
	v_lshrrev_b32_e32 v28, 2, v3
	v_mad_u64_u32 v[14:15], s[0:1], v1, s60, 0
	v_xor_b32_e32 v2, v2, v28
	v_xor_b32_e32 v1, v25, v15
	v_mad_u64_u32 v[2:3], s[0:1], v2, s60, 0
	v_xor_b32_e32 v1, v1, v2
	v_mad_u64_u32 v[8:9], s[0:1], v1, s61, 0
	s_mov_b32 s0, 0xbb67ae85
	v_add_co_u32_e32 v29, vcc, s0, v0
	v_xor_b32_e32 v2, v29, v3
	v_xor_b32_e32 v2, v2, v4
	v_xor_b32_e32 v1, v24, v9
	v_mad_u64_u32 v[2:3], s[0:1], v2, s61, 0
	v_xor_b32_e32 v1, v1, v2
	v_mad_u64_u32 v[4:5], s[0:1], v1, s60, 0
	s_mov_b32 s0, 0x3c6ef372
	v_add_co_u32_e32 v30, vcc, s0, v10
	v_xor_b32_e32 v2, v30, v3
	;; [unrolled: 8-line block ×6, first 2 shown]
	v_add_co_u32_e32 v19, vcc, 0xdb3d7428, v0
	v_xor_b32_e32 v2, v2, v6
	v_xor_b32_e32 v1, v19, v39
	v_mad_u64_u32 v[2:3], s[0:1], v2, s60, 0
	v_xor_b32_e32 v1, v1, v2
	v_mad_u64_u32 v[40:41], s[0:1], v1, s61, 0
	s_mov_b32 s0, 0x1fd5c5a3
	v_add_co_u32_e32 v35, vcc, s0, v0
	v_xor_b32_e32 v0, v35, v3
	v_xor_b32_e32 v0, v0, v14
	s_load_dwordx2 s[46:47], s[4:5], 0xf4
	s_load_dwordx4 s[28:31], s[4:5], 0x138
	v_mad_u64_u32 v[0:1], s[0:1], v0, s61, 0
	s_mov_b32 s0, 0xf1bbcdc8
	v_add_u32_e32 v17, 0x8ff34781, v10
	v_xor_b32_e32 v0, v41, v0
	v_add_co_u32_e32 v36, vcc, s0, v10
	v_xor_b32_e32 v4, v17, v0
	v_xor_b32_e32 v0, v36, v1
	;; [unrolled: 1-line block ×3, first 2 shown]
	s_waitcnt lgkmcnt(0)
	v_cvt_f32_f64_e32 v37, s[30:31]
	v_mad_u64_u32 v[0:1], s[0:1], v0, s60, 0
	v_sub_f32_e32 v2, 1.0, v37
	v_add_u32_e32 v18, 0x96a522ad, v11
	v_xor_b32_e32 v1, v1, v38
	v_mov_b32_e32 v7, v0
	v_add_f32_e32 v0, -1.0, v2
	v_xor_b32_e32 v6, v18, v1
	v_sub_f32_e32 v1, v0, v2
	v_add_f32_e32 v1, 1.0, v1
	v_sub_f32_e64 v0, -v37, v0
	v_add_f32_e32 v3, v0, v1
	v_frexp_mant_f32_e32 v8, v2
	s_mov_b32 s2, 0x3f2aaaab
	v_cvt_f64_f32_e32 v[0:1], v2
	v_frexp_exp_i32_f64_e32 v0, v[0:1]
	v_cmp_gt_f32_e32 vcc, s2, v8
	v_subbrev_co_u32_e32 v38, vcc, 0, v0, vcc
	v_sub_u32_e32 v0, 0, v38
	v_ldexp_f32 v1, v2, v0
	v_add_f32_e32 v2, -1.0, v1
	v_add_f32_e32 v8, 1.0, v1
	v_ldexp_f32 v0, v3, v0
	v_add_f32_e32 v3, 1.0, v2
	v_add_f32_e32 v9, -1.0, v8
	v_sub_f32_e32 v3, v1, v3
	v_sub_f32_e32 v1, v1, v9
	v_add_f32_e32 v3, v0, v3
	v_add_f32_e32 v0, v0, v1
	;; [unrolled: 1-line block ×3, first 2 shown]
	v_rcp_f32_e32 v41, v39
	v_sub_f32_e32 v1, v39, v8
	v_mov_b32_e32 v5, v40
	v_sub_f32_e32 v40, v0, v1
	v_add_f32_e32 v1, v2, v3
	v_mul_f32_e32 v43, v1, v41
	v_sub_f32_e32 v0, v1, v2
	v_mul_f32_e32 v2, v39, v43
	v_fma_f32 v8, v43, v39, -v2
	v_fmac_f32_e32 v8, v43, v40
	v_sub_f32_e32 v42, v3, v0
	v_add_f32_e32 v0, v2, v8
	v_sub_f32_e32 v3, v1, v0
	v_pk_add_f32 v[14:15], v[0:1], v[2:3] neg_lo:[0,1] neg_hi:[0,1]
	v_mov_b32_e32 v9, v0
	v_pk_add_f32 v[0:1], v[14:15], v[8:9] neg_lo:[0,1] neg_hi:[0,1]
	v_add_f32_e32 v1, v42, v1
	v_add_f32_e32 v0, v0, v1
	;; [unrolled: 1-line block ×3, first 2 shown]
	v_mul_f32_e32 v42, v41, v1
	v_mul_f32_e32 v2, v39, v42
	v_fma_f32 v8, v42, v39, -v2
	v_fmac_f32_e32 v8, v42, v40
	v_sub_f32_e32 v3, v3, v1
	v_add_f32_e32 v39, v0, v3
	v_add_f32_e32 v0, v2, v8
	v_sub_f32_e32 v3, v1, v0
	v_pk_add_f32 v[14:15], v[0:1], v[2:3] neg_lo:[0,1] neg_hi:[0,1]
	v_mov_b32_e32 v9, v0
	v_pk_add_f32 v[0:1], v[14:15], v[8:9] neg_lo:[0,1] neg_hi:[0,1]
	v_add_f32_e32 v1, v39, v1
	v_add_f32_e32 v0, v0, v1
	;; [unrolled: 1-line block ×4, first 2 shown]
	v_sub_f32_e32 v1, v3, v43
	v_mul_f32_e32 v0, v41, v0
	v_sub_f32_e32 v1, v42, v1
	v_add_f32_e32 v0, v1, v0
	v_add_f32_e32 v8, v3, v0
	v_mul_f32_e32 v14, v8, v8
	v_mov_b32_e32 v2, 0x3ecc95a3
	v_fmac_f32_e32 v2, 0x3e9b6dac, v14
	v_mov_b32_e32 v1, 0x3f2aaada
	v_fmac_f32_e32 v1, v14, v2
	v_cvt_f32_i32_e32 v2, v38
	v_sub_f32_e32 v3, v8, v3
	v_sub_f32_e32 v0, v0, v3
	v_ldexp_f32 v15, v0, 1
	v_mul_f32_e32 v3, v8, v14
	v_mov_b32_e32 v0, 0x3f317218
	s_mov_b32 s2, 0x3f317218
	v_pk_mul_f32 v[0:1], v[2:3], v[0:1]
	v_ldexp_f32 v9, v8, 1
	v_fma_f32 v8, v2, s2, -v0
	v_fmac_f32_e32 v8, 0xb102e308, v2
	v_pk_add_f32 v[2:3], v[0:1], v[8:9]
	v_sub_f32_e32 v9, v3, v9
	v_sub_f32_e32 v9, v1, v9
	v_add_f32_e32 v15, v15, v9
	v_mov_b32_e32 v14, v0
	v_pk_add_f32 v[0:1], v[2:3], v[0:1] neg_lo:[0,1] neg_hi:[0,1]
	v_pk_add_f32 v[38:39], v[2:3], v[14:15]
	v_mov_b32_e32 v1, v39
	v_mov_b32_e32 v9, v2
	v_pk_add_f32 v[40:41], v[8:9], v[0:1] neg_lo:[0,1] neg_hi:[0,1]
	v_pk_add_f32 v[0:1], v[8:9], v[0:1]
	v_mov_b32_e32 v8, v1
	v_pk_add_f32 v[42:43], v[8:9], v[2:3] neg_lo:[0,1] neg_hi:[0,1]
	v_mov_b32_e32 v9, v42
	v_pk_add_f32 v[44:45], v[38:39], v[8:9] neg_lo:[0,1] neg_hi:[0,1]
	v_mov_b32_e32 v0, v39
	v_mov_b32_e32 v38, v3
	;; [unrolled: 1-line block ×4, first 2 shown]
	v_pk_add_f32 v[0:1], v[0:1], v[38:39] neg_lo:[0,1] neg_hi:[0,1]
	v_mov_b32_e32 v14, v15
	v_mov_b32_e32 v15, v2
	v_pk_add_f32 v[0:1], v[14:15], v[0:1] neg_lo:[0,1] neg_hi:[0,1]
	v_mov_b32_e32 v44, v40
	v_pk_add_f32 v[2:3], v[44:45], v[0:1]
	v_mov_b32_e32 v14, v3
	v_pk_add_f32 v[14:15], v[2:3], v[14:15]
	v_pk_add_f32 v[8:9], v[8:9], v[14:15]
	v_mov_b32_e32 v3, v8
	v_pk_add_f32 v[38:39], v[2:3], v[40:41] neg_lo:[0,1] neg_hi:[0,1]
	v_mov_b32_e32 v1, v14
	v_sub_f32_e32 v2, v2, v38
	s_load_dwordx8 s[8:15], s[4:5], 0x30
	v_pk_add_f32 v[0:1], v[0:1], v[38:39] neg_lo:[0,1] neg_hi:[0,1]
	v_sub_f32_e32 v2, v40, v2
	v_add_f32_e32 v0, v0, v2
	v_add_f32_e32 v0, v0, v1
	s_mov_b32 s2, 0xff800000
	v_add_f32_e32 v0, v8, v0
	v_cmp_eq_f32_e32 vcc, s2, v37
	s_add_u32 s34, s4, 48
	v_cndmask_b32_e64 v0, v0, -v37, vcc
	v_mov_b32_e32 v1, 0x7fc00000
	v_cmp_nlt_f32_e32 vcc, 1.0, v37
	s_addc_u32 s35, s5, 0
	s_waitcnt lgkmcnt(0)
	s_add_i32 s0, s8, -1
	v_cndmask_b32_e32 v0, v1, v0, vcc
	v_mov_b32_e32 v1, 0xff800000
	v_cmp_neq_f32_e32 vcc, 1.0, v37
	s_cmp_gt_u32 s0, 1
	v_cndmask_b32_e32 v0, v1, v0, vcc
	v_log_f32_e32 v1, s0
	s_cselect_b64 s[40:41], -1, 0
	s_cmp_lg_u32 s8, 0
	s_cselect_b64 s[42:43], -1, 0
	s_add_u32 s44, s4, 0xf4
	s_mov_b32 s2, 0x33800000
	s_addc_u32 s45, s5, 0
	s_min_u32 s1, s0, 15
	v_cmp_lt_f32_e64 s[2:3], |v37|, s2
	s_cmp_gt_u32 s8, 1
	v_cndmask_b32_e64 v37, v0, -v37, s[2:3]
	s_mov_b32 s8, 0x3f317217
	v_mul_f32_e32 v0, 0x3f317217, v1
	v_fma_f32 v2, v1, s8, -v0
	v_fmac_f32_e32 v2, 0x3377d1cf, v1
	s_mov_b32 s15, 0x7f800000
	v_add_f32_e32 v0, v0, v2
	v_cmp_lt_f32_e64 vcc, |v1|, s15
	v_cndmask_b32_e32 v0, v1, v0, vcc
	v_div_scale_f32 v1, s[2:3], v37, v37, v0
	v_rcp_f32_e32 v2, v1
	s_cselect_b64 s[48:49], -1, 0
	s_add_i32 s1, s1, 1
	s_lshl_b32 s62, s33, 1
	v_fma_f32 v3, -v1, v2, 1.0
	v_fmac_f32_e32 v2, v3, v2
	v_div_scale_f32 v3, vcc, v0, v37, v0
	v_mul_f32_e32 v8, v3, v2
	v_fma_f32 v9, -v1, v8, v3
	v_fmac_f32_e32 v8, v9, v2
	v_fma_f32 v1, -v1, v8, v3
	v_div_fmas_f32 v1, v1, v2, v8
	v_div_fixup_f32 v0, v1, v37, v0
	v_ceil_f32_e32 v0, v0
	v_bfe_u32 v1, v0, 16, 1
	s_and_b32 s67, s1, 3
	v_add_u32_e32 v1, v0, v1
	s_cmp_lg_u32 s0, 2
	v_add_u32_e32 v1, 0x7fff, v1
	s_cselect_b64 s[30:31], -1, 0
	s_and_b32 s68, s1, 28
	s_mov_b32 s59, 0
	v_lshrrev_b32_e32 v1, 16, v1
	v_mov_b32_e32 v38, 0x7fc0
	v_cmp_o_f32_e32 vcc, v0, v0
	s_cmp_lg_u32 s67, 0
	s_mov_b32 s63, s59
	s_movk_i32 s64, 0x7fff
	v_cndmask_b32_e32 v39, v38, v1, vcc
	s_mul_i32 s65, s33, 3
	s_mov_b32 s66, s59
	s_mov_b64 s[50:51], 0
	s_cselect_b64 s[52:53], -1, 0
	s_mov_b32 s69, 0x800000
	v_mov_b32_e32 v40, 0x4f800000
	v_mov_b32_e32 v41, 0x41b17218
	;; [unrolled: 1-line block ×4, first 2 shown]
	s_branch .LBB33_9
.LBB33_7:                               ;   in Loop: Header=BB33_9 Depth=1
	global_store_short v6, v39, s[28:29]
.LBB33_8:                               ;   in Loop: Header=BB33_9 Depth=1
	s_or_b64 exec, exec, s[36:37]
	v_add_co_u32_e32 v12, vcc, s58, v12
	v_mov_b32_e32 v3, v14
	v_addc_co_u32_e32 v13, vcc, 0, v13, vcc
	v_cmp_le_i64_e32 vcc, s[26:27], v[12:13]
	v_pk_mov_b32 v[6:7], v[2:3], v[2:3] op_sel:[0,1]
	s_or_b64 s[50:51], vcc, s[50:51]
	v_pk_mov_b32 v[4:5], v[0:1], v[0:1] op_sel:[0,1]
	s_barrier
	s_andn2_b64 exec, exec, s[50:51]
	s_cbranch_execz .LBB33_82
.LBB33_9:                               ; =>This Loop Header: Depth=1
                                        ;     Child Loop BB33_24 Depth 2
                                        ;     Child Loop BB33_30 Depth 2
	;; [unrolled: 1-line block ×8, first 2 shown]
	v_add_co_u32_e32 v27, vcc, 1, v27
	v_cndmask_b32_e64 v0, 0, 1, vcc
	v_addc_co_u32_e32 v28, vcc, 0, v28, vcc
	v_cmp_eq_u32_e32 vcc, 0, v28
	v_cndmask_b32_e32 v0, 0, v0, vcc
	v_add_u32_e32 v42, v0, v42
	v_cmp_eq_u32_e32 vcc, 0, v42
	v_cndmask_b32_e32 v0, 0, v0, vcc
	v_add_u32_e32 v43, v0, v43
	v_mad_u64_u32 v[0:1], s[0:1], v27, s60, 0
	v_mad_u64_u32 v[2:3], s[0:1], v42, s61, 0
	v_xor_b32_e32 v1, v1, v11
	v_xor_b32_e32 v3, v3, v10
	v_xor_b32_e32 v1, v43, v1
	v_xor_b32_e32 v3, v28, v3
	v_mad_u64_u32 v[14:15], s[0:1], v1, s61, 0
	v_mad_u64_u32 v[8:9], s[0:1], v3, s60, 0
	v_xor_b32_e32 v1, v26, v15
	v_xor_b32_e32 v1, v1, v2
	v_xor_b32_e32 v2, v29, v9
	v_xor_b32_e32 v2, v2, v0
	;; [unrolled: 6-line block ×10, first 2 shown]
	v_mov_b32_e32 v1, v8
	v_mov_b32_e32 v2, v9
	v_cmp_lt_i32_e32 vcc, 1, v16
	s_and_saveexec_b64 s[0:1], vcc
	s_xor_b64 s[0:1], exec, s[0:1]
	s_cbranch_execz .LBB33_15
; %bb.10:                               ;   in Loop: Header=BB33_9 Depth=1
	v_cmp_lt_i32_e32 vcc, 2, v16
	s_and_saveexec_b64 s[2:3], vcc
	s_xor_b64 s[2:3], exec, s[2:3]
; %bb.11:                               ;   in Loop: Header=BB33_9 Depth=1
	v_mov_b32_e32 v6, v7
	v_mov_b32_e32 v7, v0
	v_pk_mov_b32 v[4:5], v[6:7], v[6:7] op_sel:[0,1]
	v_pk_mov_b32 v[6:7], v[8:9], v[8:9] op_sel:[0,1]
                                        ; implicit-def: $vgpr8_vgpr9
; %bb.12:                               ;   in Loop: Header=BB33_9 Depth=1
	s_andn2_saveexec_b64 s[2:3], s[2:3]
; %bb.13:                               ;   in Loop: Header=BB33_9 Depth=1
	v_mov_b32_e32 v4, v6
	v_mov_b32_e32 v5, v7
	;; [unrolled: 1-line block ×4, first 2 shown]
; %bb.14:                               ;   in Loop: Header=BB33_9 Depth=1
	s_or_b64 exec, exec, s[2:3]
.LBB33_15:                              ;   in Loop: Header=BB33_9 Depth=1
	s_andn2_saveexec_b64 s[0:1], s[0:1]
	s_cbranch_execz .LBB33_19
; %bb.16:                               ;   in Loop: Header=BB33_9 Depth=1
	v_cmp_eq_u32_e32 vcc, 1, v16
	s_and_saveexec_b64 s[2:3], vcc
; %bb.17:                               ;   in Loop: Header=BB33_9 Depth=1
	v_mov_b32_e32 v4, v5
	v_mov_b32_e32 v5, v6
	;; [unrolled: 1-line block ×4, first 2 shown]
; %bb.18:                               ;   in Loop: Header=BB33_9 Depth=1
	s_or_b64 exec, exec, s[2:3]
.LBB33_19:                              ;   in Loop: Header=BB33_9 Depth=1
	s_or_b64 exec, exec, s[0:1]
	v_cndmask_b32_e64 v3, 0, 1, s[40:41]
	v_cmp_gt_i64_e32 vcc, s[24:25], v[12:13]
	v_cmp_ne_u32_e64 s[0:1], 1, v3
	s_and_saveexec_b64 s[54:55], vcc
	s_cbranch_execz .LBB33_35
; %bb.20:                               ;   in Loop: Header=BB33_9 Depth=1
	s_and_b64 vcc, exec, s[0:1]
	s_cbranch_vccnz .LBB33_26
; %bb.21:                               ;   in Loop: Header=BB33_9 Depth=1
	s_andn2_b64 vcc, exec, s[42:43]
	s_cbranch_vccnz .LBB33_27
; %bb.22:                               ;   in Loop: Header=BB33_9 Depth=1
	s_mov_b32 s4, 0
	s_andn2_b64 vcc, exec, s[30:31]
	v_mov_b32_e32 v8, 0
	s_cbranch_vccnz .LBB33_28
; %bb.23:                               ;   in Loop: Header=BB33_9 Depth=1
	s_mov_b32 s70, 0
	v_mov_b32_e32 v8, 0
	s_mov_b64 s[2:3], s[34:35]
	s_mov_b64 s[56:57], s[44:45]
	v_mov_b32_e32 v3, v12
.LBB33_24:                              ;   Parent Loop BB33_9 Depth=1
                                        ; =>  This Inner Loop Header: Depth=2
	s_load_dwordx8 s[16:23], s[2:3], 0x4
	s_load_dwordx4 s[4:7], s[2:3], 0x24
	s_load_dwordx4 s[36:39], s[56:57], 0x0
	s_add_u32 s2, s2, 48
	s_addc_u32 s3, s3, 0
	s_waitcnt lgkmcnt(0)
	v_mul_hi_u32 v9, s17, v3
	v_add_u32_e32 v9, v3, v9
	v_lshrrev_b32_e32 v9, s18, v9
	v_mul_lo_u32 v15, v9, s16
	v_mul_hi_u32 v44, s20, v9
	v_sub_u32_e32 v3, v3, v15
	v_add_u32_e32 v15, v9, v44
	v_lshrrev_b32_e32 v15, s21, v15
	v_mul_lo_u32 v44, v15, s19
	v_mul_hi_u32 v45, s23, v15
	v_sub_u32_e32 v9, v9, v44
	v_add_u32_e32 v44, v15, v45
	v_mul_lo_u32 v3, v3, s36
	v_mul_lo_u32 v9, v9, s37
	v_lshrrev_b32_e32 v44, s4, v44
	v_add3_u32 v8, v3, v8, v9
	v_mul_lo_u32 v3, v44, s22
	v_mul_hi_u32 v9, s6, v44
	v_sub_u32_e32 v3, v15, v3
	v_add_u32_e32 v9, v44, v9
	v_mul_lo_u32 v15, v3, s38
	v_lshrrev_b32_e32 v3, s7, v9
	s_add_i32 s70, s70, 4
	v_mul_lo_u32 v9, v3, s5
	s_add_u32 s56, s56, 16
	v_sub_u32_e32 v9, v44, v9
	s_addc_u32 s57, s57, 0
	v_mul_lo_u32 v9, v9, s39
	s_cmp_lg_u32 s68, s70
	v_add3_u32 v8, v15, v8, v9
	s_cbranch_scc1 .LBB33_24
; %bb.25:                               ;   in Loop: Header=BB33_9 Depth=1
	s_mov_b32 s4, s68
	s_andn2_b64 vcc, exec, s[52:53]
	s_cbranch_vccz .LBB33_29
	s_branch .LBB33_31
.LBB33_26:                              ;   in Loop: Header=BB33_9 Depth=1
                                        ; implicit-def: $vgpr8
	s_branch .LBB33_32
.LBB33_27:                              ;   in Loop: Header=BB33_9 Depth=1
	v_mov_b32_e32 v8, 0
	s_branch .LBB33_31
.LBB33_28:                              ;   in Loop: Header=BB33_9 Depth=1
	v_mov_b32_e32 v3, v12
	s_andn2_b64 vcc, exec, s[52:53]
	s_cbranch_vccnz .LBB33_31
.LBB33_29:                              ;   in Loop: Header=BB33_9 Depth=1
	s_lshl_b32 s2, s4, 2
	s_add_u32 s2, s44, s2
	s_addc_u32 s3, s45, 0
	s_mul_i32 s4, s4, 12
	s_add_u32 s4, s34, s4
	s_addc_u32 s5, s35, 0
	s_mov_b32 s6, s67
.LBB33_30:                              ;   Parent Loop BB33_9 Depth=1
                                        ; =>  This Inner Loop Header: Depth=2
	s_load_dwordx2 s[16:17], s[4:5], 0x4
	s_load_dword s7, s[4:5], 0xc
	s_load_dword s18, s[2:3], 0x0
	s_add_u32 s4, s4, 12
	s_addc_u32 s5, s5, 0
	s_waitcnt lgkmcnt(0)
	v_mul_hi_u32 v9, s17, v3
	v_add_u32_e32 v9, v3, v9
	v_lshrrev_b32_e32 v9, s7, v9
	s_add_u32 s2, s2, 4
	v_mul_lo_u32 v15, v9, s16
	s_addc_u32 s3, s3, 0
	s_add_i32 s6, s6, -1
	v_sub_u32_e32 v15, v3, v15
	s_cmp_lg_u32 s6, 0
	v_mov_b32_e32 v3, v9
	v_mad_u64_u32 v[8:9], s[16:17], v15, s18, v[8:9]
	s_cbranch_scc1 .LBB33_30
.LBB33_31:                              ;   in Loop: Header=BB33_9 Depth=1
	s_cbranch_execnz .LBB33_34
.LBB33_32:                              ;   in Loop: Header=BB33_9 Depth=1
	v_mul_hi_u32 v3, v12, s10
	v_add_u32_e32 v3, v3, v12
	v_lshrrev_b32_e32 v3, s11, v3
	v_mul_lo_u32 v8, v3, s9
	v_sub_u32_e32 v8, v12, v8
	s_andn2_b64 vcc, exec, s[48:49]
	v_mul_lo_u32 v8, v8, s46
	s_cbranch_vccnz .LBB33_34
; %bb.33:                               ;   in Loop: Header=BB33_9 Depth=1
	v_mul_hi_u32 v9, s13, v3
	v_add_u32_e32 v9, v3, v9
	v_lshrrev_b32_e32 v9, s14, v9
	v_mul_lo_u32 v9, v9, s12
	v_sub_u32_e32 v3, v3, v9
	v_mad_u64_u32 v[8:9], s[2:3], v3, s47, v[8:9]
.LBB33_34:                              ;   in Loop: Header=BB33_9 Depth=1
	v_lshrrev_b32_e32 v3, 11, v5
	v_cvt_f64_u32_e32 v[44:45], v3
	v_ldexp_f64 v[44:45], v[44:45], 32
	v_cvt_f64_u32_e32 v[4:5], v4
	v_add_f64 v[4:5], v[44:45], v[4:5]
	v_mov_b32_e32 v44, 0
	v_mov_b32_e32 v45, 0x3ca00000
	v_fmac_f64_e32 v[44:45], 0x3ca00000, v[4:5]
	v_cvt_f32_f64_e32 v3, v[44:45]
	v_cmp_gt_f32_e32 vcc, s69, v3
	v_cndmask_b32_e32 v4, 1.0, v40, vcc
	v_mul_f32_e32 v3, v3, v4
	v_log_f32_e32 v3, v3
	v_mul_f32_e32 v4, 0x3f317217, v3
	v_fma_f32 v5, v3, s8, -v4
	v_fmac_f32_e32 v5, 0x3377d1cf, v3
	v_add_f32_e32 v4, v4, v5
	v_cmp_lt_f32_e64 s[2:3], |v3|, s15
	v_cndmask_b32_e64 v3, v3, v4, s[2:3]
	v_cndmask_b32_e32 v4, 0, v41, vcc
	v_sub_f32_e32 v3, v3, v4
	v_div_scale_f32 v4, s[2:3], v37, v37, v3
	v_rcp_f32_e32 v5, v4
	v_fma_f32 v9, -v4, v5, 1.0
	v_fmac_f32_e32 v5, v9, v5
	v_div_scale_f32 v9, vcc, v3, v37, v3
	v_mul_f32_e32 v15, v9, v5
	v_fma_f32 v44, -v4, v15, v9
	v_fmac_f32_e32 v15, v44, v5
	v_fma_f32 v4, -v4, v15, v9
	v_div_fmas_f32 v4, v4, v5, v15
	v_div_fixup_f32 v3, v4, v37, v3
	v_ceil_f32_e32 v3, v3
	v_bfe_u32 v4, v3, 16, 1
	v_add3_u32 v4, v3, v4, s64
	v_lshrrev_b32_e32 v4, 16, v4
	v_cmp_o_f32_e32 vcc, v3, v3
	v_cndmask_b32_e32 v3, v38, v4, vcc
	global_store_short v8, v3, s[28:29]
.LBB33_35:                              ;   in Loop: Header=BB33_9 Depth=1
	s_or_b64 exec, exec, s[54:55]
	v_mov_b32_e32 v3, s59
	v_add_co_u32_e32 v8, vcc, s33, v12
	v_addc_co_u32_e32 v9, vcc, v13, v3, vcc
	v_cmp_gt_i64_e32 vcc, s[24:25], v[8:9]
	s_and_saveexec_b64 s[54:55], vcc
	s_cbranch_execz .LBB33_51
; %bb.36:                               ;   in Loop: Header=BB33_9 Depth=1
	s_and_b64 vcc, exec, s[0:1]
	s_cbranch_vccnz .LBB33_42
; %bb.37:                               ;   in Loop: Header=BB33_9 Depth=1
	s_andn2_b64 vcc, exec, s[42:43]
	s_cbranch_vccnz .LBB33_43
; %bb.38:                               ;   in Loop: Header=BB33_9 Depth=1
	s_mov_b32 s4, 0
	s_andn2_b64 vcc, exec, s[30:31]
	v_mov_b32_e32 v4, 0
	s_cbranch_vccnz .LBB33_44
; %bb.39:                               ;   in Loop: Header=BB33_9 Depth=1
	s_mov_b32 s70, 0
	v_mov_b32_e32 v4, 0
	s_mov_b64 s[2:3], s[34:35]
	s_mov_b64 s[56:57], s[44:45]
	v_mov_b32_e32 v3, v8
.LBB33_40:                              ;   Parent Loop BB33_9 Depth=1
                                        ; =>  This Inner Loop Header: Depth=2
	s_load_dwordx8 s[16:23], s[2:3], 0x4
	s_load_dwordx4 s[4:7], s[2:3], 0x24
	s_load_dwordx4 s[36:39], s[56:57], 0x0
	s_add_u32 s2, s2, 48
	s_addc_u32 s3, s3, 0
	s_waitcnt lgkmcnt(0)
	v_mul_hi_u32 v5, s17, v3
	v_add_u32_e32 v5, v3, v5
	v_lshrrev_b32_e32 v5, s18, v5
	v_mul_lo_u32 v9, v5, s16
	v_mul_hi_u32 v15, s20, v5
	v_sub_u32_e32 v3, v3, v9
	v_add_u32_e32 v9, v5, v15
	v_lshrrev_b32_e32 v9, s21, v9
	v_mul_lo_u32 v15, v9, s19
	v_mul_hi_u32 v44, s23, v9
	v_sub_u32_e32 v5, v5, v15
	v_add_u32_e32 v15, v9, v44
	v_mul_lo_u32 v3, v3, s36
	v_mul_lo_u32 v5, v5, s37
	v_lshrrev_b32_e32 v15, s4, v15
	v_add3_u32 v4, v3, v4, v5
	v_mul_lo_u32 v3, v15, s22
	v_mul_hi_u32 v5, s6, v15
	v_sub_u32_e32 v3, v9, v3
	v_add_u32_e32 v5, v15, v5
	v_mul_lo_u32 v9, v3, s38
	v_lshrrev_b32_e32 v3, s7, v5
	s_add_i32 s70, s70, 4
	v_mul_lo_u32 v5, v3, s5
	s_add_u32 s56, s56, 16
	v_sub_u32_e32 v5, v15, v5
	s_addc_u32 s57, s57, 0
	v_mul_lo_u32 v5, v5, s39
	s_cmp_eq_u32 s68, s70
	v_add3_u32 v4, v9, v4, v5
	s_cbranch_scc0 .LBB33_40
; %bb.41:                               ;   in Loop: Header=BB33_9 Depth=1
	s_mov_b32 s4, s68
	s_andn2_b64 vcc, exec, s[52:53]
	s_cbranch_vccz .LBB33_45
	s_branch .LBB33_47
.LBB33_42:                              ;   in Loop: Header=BB33_9 Depth=1
                                        ; implicit-def: $vgpr4
	s_branch .LBB33_48
.LBB33_43:                              ;   in Loop: Header=BB33_9 Depth=1
	v_mov_b32_e32 v4, 0
	s_branch .LBB33_47
.LBB33_44:                              ;   in Loop: Header=BB33_9 Depth=1
	v_mov_b32_e32 v3, v8
	s_andn2_b64 vcc, exec, s[52:53]
	s_cbranch_vccnz .LBB33_47
.LBB33_45:                              ;   in Loop: Header=BB33_9 Depth=1
	s_lshl_b32 s2, s4, 2
	s_add_u32 s2, s44, s2
	s_addc_u32 s3, s45, 0
	s_mul_i32 s4, s4, 12
	s_add_u32 s4, s34, s4
	s_addc_u32 s5, s35, 0
	s_mov_b32 s6, s67
.LBB33_46:                              ;   Parent Loop BB33_9 Depth=1
                                        ; =>  This Inner Loop Header: Depth=2
	s_load_dwordx2 s[16:17], s[4:5], 0x4
	s_load_dword s7, s[4:5], 0xc
	s_load_dword s18, s[2:3], 0x0
	s_add_u32 s4, s4, 12
	s_addc_u32 s5, s5, 0
	s_waitcnt lgkmcnt(0)
	v_mul_hi_u32 v5, s17, v3
	v_add_u32_e32 v5, v3, v5
	v_lshrrev_b32_e32 v5, s7, v5
	s_add_u32 s2, s2, 4
	v_mul_lo_u32 v9, v5, s16
	s_addc_u32 s3, s3, 0
	s_add_i32 s6, s6, -1
	v_sub_u32_e32 v9, v3, v9
	s_cmp_lg_u32 s6, 0
	v_mov_b32_e32 v3, v5
	v_mad_u64_u32 v[4:5], s[16:17], v9, s18, v[4:5]
	s_cbranch_scc1 .LBB33_46
.LBB33_47:                              ;   in Loop: Header=BB33_9 Depth=1
	s_cbranch_execnz .LBB33_50
.LBB33_48:                              ;   in Loop: Header=BB33_9 Depth=1
	v_mul_hi_u32 v3, v8, s10
	v_add_u32_e32 v3, v3, v8
	v_lshrrev_b32_e32 v3, s11, v3
	v_mul_lo_u32 v4, v3, s9
	v_sub_u32_e32 v4, v8, v4
	s_andn2_b64 vcc, exec, s[48:49]
	v_mul_lo_u32 v4, v4, s46
	s_cbranch_vccnz .LBB33_50
; %bb.49:                               ;   in Loop: Header=BB33_9 Depth=1
	v_mul_hi_u32 v5, s13, v3
	v_add_u32_e32 v5, v3, v5
	v_lshrrev_b32_e32 v5, s14, v5
	v_mul_lo_u32 v5, v5, s12
	v_sub_u32_e32 v3, v3, v5
	v_mad_u64_u32 v[4:5], s[2:3], v3, s47, v[4:5]
.LBB33_50:                              ;   in Loop: Header=BB33_9 Depth=1
	v_lshrrev_b32_e32 v3, 11, v7
	v_cvt_f64_u32_e32 v[8:9], v3
	v_ldexp_f64 v[8:9], v[8:9], 32
	v_cvt_f64_u32_e32 v[6:7], v6
	v_add_f64 v[6:7], v[8:9], v[6:7]
	v_mov_b32_e32 v8, 0
	v_mov_b32_e32 v9, 0x3ca00000
	v_fmac_f64_e32 v[8:9], 0x3ca00000, v[6:7]
	v_cvt_f32_f64_e32 v3, v[8:9]
	v_cmp_gt_f32_e32 vcc, s69, v3
	v_cndmask_b32_e32 v5, 1.0, v40, vcc
	v_mul_f32_e32 v3, v3, v5
	v_log_f32_e32 v3, v3
	v_mul_f32_e32 v5, 0x3f317217, v3
	v_fma_f32 v6, v3, s8, -v5
	v_fmac_f32_e32 v6, 0x3377d1cf, v3
	v_add_f32_e32 v5, v5, v6
	v_cmp_lt_f32_e64 s[2:3], |v3|, s15
	v_cndmask_b32_e64 v3, v3, v5, s[2:3]
	v_cndmask_b32_e32 v5, 0, v41, vcc
	v_sub_f32_e32 v3, v3, v5
	v_div_scale_f32 v5, s[2:3], v37, v37, v3
	v_rcp_f32_e32 v6, v5
	v_fma_f32 v7, -v5, v6, 1.0
	v_fmac_f32_e32 v6, v7, v6
	v_div_scale_f32 v7, vcc, v3, v37, v3
	v_mul_f32_e32 v8, v7, v6
	v_fma_f32 v9, -v5, v8, v7
	v_fmac_f32_e32 v8, v9, v6
	v_fma_f32 v5, -v5, v8, v7
	v_div_fmas_f32 v5, v5, v6, v8
	v_div_fixup_f32 v3, v5, v37, v3
	v_ceil_f32_e32 v3, v3
	v_bfe_u32 v5, v3, 16, 1
	v_add3_u32 v5, v3, v5, s64
	v_lshrrev_b32_e32 v5, 16, v5
	v_cmp_o_f32_e32 vcc, v3, v3
	v_cndmask_b32_e32 v3, v38, v5, vcc
	global_store_short v4, v3, s[28:29]
.LBB33_51:                              ;   in Loop: Header=BB33_9 Depth=1
	s_or_b64 exec, exec, s[54:55]
	v_mov_b32_e32 v3, s63
	v_add_co_u32_e32 v4, vcc, s62, v12
	v_addc_co_u32_e32 v5, vcc, v13, v3, vcc
	v_cmp_gt_i64_e32 vcc, s[24:25], v[4:5]
	s_and_saveexec_b64 s[2:3], vcc
	s_cbranch_execz .LBB33_67
; %bb.52:                               ;   in Loop: Header=BB33_9 Depth=1
	s_and_b64 vcc, exec, s[0:1]
	s_cbranch_vccnz .LBB33_58
; %bb.53:                               ;   in Loop: Header=BB33_9 Depth=1
	s_andn2_b64 vcc, exec, s[42:43]
	s_cbranch_vccnz .LBB33_59
; %bb.54:                               ;   in Loop: Header=BB33_9 Depth=1
	s_mov_b32 s6, 0
	s_andn2_b64 vcc, exec, s[30:31]
	v_mov_b32_e32 v6, 0
	s_cbranch_vccnz .LBB33_60
; %bb.55:                               ;   in Loop: Header=BB33_9 Depth=1
	s_mov_b32 s70, 0
	v_mov_b32_e32 v6, 0
	s_mov_b64 s[54:55], s[34:35]
	s_mov_b64 s[56:57], s[44:45]
	v_mov_b32_e32 v3, v4
.LBB33_56:                              ;   Parent Loop BB33_9 Depth=1
                                        ; =>  This Inner Loop Header: Depth=2
	s_load_dwordx8 s[16:23], s[54:55], 0x4
	s_load_dwordx4 s[4:7], s[54:55], 0x24
	s_load_dwordx4 s[36:39], s[56:57], 0x0
	s_add_u32 s54, s54, 48
	s_addc_u32 s55, s55, 0
	s_waitcnt lgkmcnt(0)
	v_mul_hi_u32 v5, s17, v3
	v_add_u32_e32 v5, v3, v5
	v_lshrrev_b32_e32 v5, s18, v5
	v_mul_lo_u32 v7, v5, s16
	v_mul_hi_u32 v8, s20, v5
	v_sub_u32_e32 v3, v3, v7
	v_add_u32_e32 v7, v5, v8
	v_lshrrev_b32_e32 v7, s21, v7
	v_mul_lo_u32 v8, v7, s19
	v_mul_hi_u32 v9, s23, v7
	v_sub_u32_e32 v5, v5, v8
	v_add_u32_e32 v8, v7, v9
	v_mul_lo_u32 v3, v3, s36
	v_mul_lo_u32 v5, v5, s37
	v_lshrrev_b32_e32 v8, s4, v8
	v_add3_u32 v5, v3, v6, v5
	v_mul_lo_u32 v3, v8, s22
	v_mul_hi_u32 v6, s6, v8
	v_sub_u32_e32 v3, v7, v3
	v_add_u32_e32 v6, v8, v6
	v_mul_lo_u32 v7, v3, s38
	v_lshrrev_b32_e32 v3, s7, v6
	s_add_i32 s70, s70, 4
	v_mul_lo_u32 v6, v3, s5
	s_add_u32 s56, s56, 16
	v_sub_u32_e32 v6, v8, v6
	s_addc_u32 s57, s57, 0
	v_mul_lo_u32 v6, v6, s39
	s_cmp_eq_u32 s68, s70
	v_add3_u32 v6, v7, v5, v6
	s_cbranch_scc0 .LBB33_56
; %bb.57:                               ;   in Loop: Header=BB33_9 Depth=1
	s_mov_b32 s6, s68
	s_andn2_b64 vcc, exec, s[52:53]
	s_cbranch_vccz .LBB33_61
	s_branch .LBB33_63
.LBB33_58:                              ;   in Loop: Header=BB33_9 Depth=1
                                        ; implicit-def: $vgpr6
	s_branch .LBB33_64
.LBB33_59:                              ;   in Loop: Header=BB33_9 Depth=1
	v_mov_b32_e32 v6, 0
	s_branch .LBB33_63
.LBB33_60:                              ;   in Loop: Header=BB33_9 Depth=1
	v_mov_b32_e32 v3, v4
	s_andn2_b64 vcc, exec, s[52:53]
	s_cbranch_vccnz .LBB33_63
.LBB33_61:                              ;   in Loop: Header=BB33_9 Depth=1
	s_lshl_b32 s4, s6, 2
	s_add_u32 s4, s44, s4
	s_addc_u32 s5, s45, 0
	s_mul_i32 s6, s6, 12
	s_add_u32 s6, s34, s6
	s_addc_u32 s7, s35, 0
	s_mov_b32 s16, s67
.LBB33_62:                              ;   Parent Loop BB33_9 Depth=1
                                        ; =>  This Inner Loop Header: Depth=2
	s_load_dwordx2 s[18:19], s[6:7], 0x4
	s_load_dword s17, s[6:7], 0xc
	s_load_dword s20, s[4:5], 0x0
	s_add_u32 s6, s6, 12
	s_addc_u32 s7, s7, 0
	s_waitcnt lgkmcnt(0)
	v_mul_hi_u32 v5, s19, v3
	v_add_u32_e32 v5, v3, v5
	v_lshrrev_b32_e32 v5, s17, v5
	s_add_u32 s4, s4, 4
	v_mul_lo_u32 v7, v5, s18
	s_addc_u32 s5, s5, 0
	s_add_i32 s16, s16, -1
	v_sub_u32_e32 v7, v3, v7
	s_cmp_lg_u32 s16, 0
	v_mov_b32_e32 v3, v5
	v_mad_u64_u32 v[6:7], s[18:19], v7, s20, v[6:7]
	s_cbranch_scc1 .LBB33_62
.LBB33_63:                              ;   in Loop: Header=BB33_9 Depth=1
	s_cbranch_execnz .LBB33_66
.LBB33_64:                              ;   in Loop: Header=BB33_9 Depth=1
	v_mul_hi_u32 v3, v4, s10
	v_add_u32_e32 v3, v3, v4
	v_lshrrev_b32_e32 v3, s11, v3
	v_mul_lo_u32 v5, v3, s9
	v_sub_u32_e32 v4, v4, v5
	s_andn2_b64 vcc, exec, s[48:49]
	v_mul_lo_u32 v6, v4, s46
	s_cbranch_vccnz .LBB33_66
; %bb.65:                               ;   in Loop: Header=BB33_9 Depth=1
	v_mul_hi_u32 v4, s13, v3
	v_add_u32_e32 v4, v3, v4
	v_lshrrev_b32_e32 v4, s14, v4
	v_mul_lo_u32 v4, v4, s12
	v_sub_u32_e32 v3, v3, v4
	v_mad_u64_u32 v[6:7], s[4:5], v3, s47, v[6:7]
.LBB33_66:                              ;   in Loop: Header=BB33_9 Depth=1
	global_store_short v6, v39, s[28:29]
.LBB33_67:                              ;   in Loop: Header=BB33_9 Depth=1
	s_or_b64 exec, exec, s[2:3]
	v_mov_b32_e32 v3, s66
	v_add_co_u32_e32 v4, vcc, s65, v12
	v_addc_co_u32_e32 v5, vcc, v13, v3, vcc
	v_cmp_gt_i64_e32 vcc, s[24:25], v[4:5]
	s_and_saveexec_b64 s[36:37], vcc
	s_cbranch_execz .LBB33_8
; %bb.68:                               ;   in Loop: Header=BB33_9 Depth=1
	s_and_b64 vcc, exec, s[0:1]
	s_cbranch_vccnz .LBB33_74
; %bb.69:                               ;   in Loop: Header=BB33_9 Depth=1
	s_andn2_b64 vcc, exec, s[42:43]
	s_cbranch_vccnz .LBB33_75
; %bb.70:                               ;   in Loop: Header=BB33_9 Depth=1
	s_mov_b32 s2, 0
	s_andn2_b64 vcc, exec, s[30:31]
	v_mov_b32_e32 v6, 0
	s_cbranch_vccnz .LBB33_76
; %bb.71:                               ;   in Loop: Header=BB33_9 Depth=1
	s_mov_b32 s56, 0
	v_mov_b32_e32 v6, 0
	s_mov_b64 s[38:39], s[34:35]
	s_mov_b64 s[54:55], s[44:45]
	v_mov_b32_e32 v3, v4
.LBB33_72:                              ;   Parent Loop BB33_9 Depth=1
                                        ; =>  This Inner Loop Header: Depth=2
	s_load_dwordx8 s[0:7], s[38:39], 0x4
	s_load_dwordx4 s[16:19], s[38:39], 0x24
	s_load_dwordx4 s[20:23], s[54:55], 0x0
	s_add_u32 s38, s38, 48
	s_addc_u32 s39, s39, 0
	s_waitcnt lgkmcnt(0)
	v_mul_hi_u32 v5, s1, v3
	v_add_u32_e32 v5, v3, v5
	v_lshrrev_b32_e32 v5, s2, v5
	v_mul_lo_u32 v7, v5, s0
	v_mul_hi_u32 v8, s4, v5
	v_sub_u32_e32 v3, v3, v7
	v_add_u32_e32 v7, v5, v8
	v_lshrrev_b32_e32 v7, s5, v7
	v_mul_lo_u32 v8, v7, s3
	v_mul_hi_u32 v9, s7, v7
	v_sub_u32_e32 v5, v5, v8
	v_add_u32_e32 v8, v7, v9
	v_mul_lo_u32 v3, v3, s20
	v_mul_lo_u32 v5, v5, s21
	v_lshrrev_b32_e32 v8, s16, v8
	v_add3_u32 v5, v3, v6, v5
	v_mul_lo_u32 v3, v8, s6
	v_mul_hi_u32 v6, s18, v8
	v_sub_u32_e32 v3, v7, v3
	v_add_u32_e32 v6, v8, v6
	v_mul_lo_u32 v7, v3, s22
	v_lshrrev_b32_e32 v3, s19, v6
	s_add_i32 s56, s56, 4
	v_mul_lo_u32 v6, v3, s17
	s_add_u32 s54, s54, 16
	v_sub_u32_e32 v6, v8, v6
	s_addc_u32 s55, s55, 0
	v_mul_lo_u32 v6, v6, s23
	s_cmp_eq_u32 s68, s56
	v_add3_u32 v6, v7, v5, v6
	s_cbranch_scc0 .LBB33_72
; %bb.73:                               ;   in Loop: Header=BB33_9 Depth=1
	s_mov_b32 s2, s68
	s_andn2_b64 vcc, exec, s[52:53]
	s_cbranch_vccz .LBB33_77
	s_branch .LBB33_79
.LBB33_74:                              ;   in Loop: Header=BB33_9 Depth=1
                                        ; implicit-def: $vgpr6
	s_branch .LBB33_80
.LBB33_75:                              ;   in Loop: Header=BB33_9 Depth=1
	v_mov_b32_e32 v6, 0
	s_branch .LBB33_79
.LBB33_76:                              ;   in Loop: Header=BB33_9 Depth=1
	v_mov_b32_e32 v3, v4
	s_andn2_b64 vcc, exec, s[52:53]
	s_cbranch_vccnz .LBB33_79
.LBB33_77:                              ;   in Loop: Header=BB33_9 Depth=1
	s_lshl_b32 s0, s2, 2
	s_add_u32 s0, s44, s0
	s_addc_u32 s1, s45, 0
	s_mul_i32 s2, s2, 12
	s_add_u32 s2, s34, s2
	s_addc_u32 s3, s35, 0
	s_mov_b32 s4, s67
.LBB33_78:                              ;   Parent Loop BB33_9 Depth=1
                                        ; =>  This Inner Loop Header: Depth=2
	s_load_dwordx2 s[6:7], s[2:3], 0x4
	s_load_dword s5, s[2:3], 0xc
	s_load_dword s16, s[0:1], 0x0
	s_add_u32 s2, s2, 12
	s_addc_u32 s3, s3, 0
	s_waitcnt lgkmcnt(0)
	v_mul_hi_u32 v5, s7, v3
	v_add_u32_e32 v5, v3, v5
	v_lshrrev_b32_e32 v5, s5, v5
	s_add_u32 s0, s0, 4
	v_mul_lo_u32 v7, v5, s6
	s_addc_u32 s1, s1, 0
	s_add_i32 s4, s4, -1
	v_sub_u32_e32 v7, v3, v7
	s_cmp_lg_u32 s4, 0
	v_mov_b32_e32 v3, v5
	v_mad_u64_u32 v[6:7], s[6:7], v7, s16, v[6:7]
	s_cbranch_scc1 .LBB33_78
.LBB33_79:                              ;   in Loop: Header=BB33_9 Depth=1
	s_cbranch_execnz .LBB33_7
.LBB33_80:                              ;   in Loop: Header=BB33_9 Depth=1
	v_mul_hi_u32 v3, v4, s10
	v_add_u32_e32 v3, v3, v4
	v_lshrrev_b32_e32 v3, s11, v3
	v_mul_lo_u32 v5, v3, s9
	v_sub_u32_e32 v4, v4, v5
	s_andn2_b64 vcc, exec, s[48:49]
	v_mul_lo_u32 v6, v4, s46
	s_cbranch_vccnz .LBB33_7
; %bb.81:                               ;   in Loop: Header=BB33_9 Depth=1
	v_mul_hi_u32 v4, s13, v3
	v_add_u32_e32 v4, v3, v4
	v_lshrrev_b32_e32 v4, s14, v4
	v_mul_lo_u32 v4, v4, s12
	v_sub_u32_e32 v3, v3, v4
	v_mad_u64_u32 v[6:7], s[0:1], v3, s47, v[6:7]
	s_branch .LBB33_7
.LBB33_82:
	s_endpgm
.LBB33_83:
                                        ; implicit-def: $sgpr2_sgpr3
	s_andn2_b64 vcc, exec, s[0:1]
	s_cbranch_vccz .LBB33_4
	s_branch .LBB33_5
	.section	.rodata,"a",@progbits
	.p2align	6, 0x0
	.amdhsa_kernel _ZN2at6native12_GLOBAL__N_143distribution_elementwise_grid_stride_kernelIfLi4EZNS0_9templates4cuda21uniform_and_transformIN3c108BFloat16EfPNS_17CUDAGeneratorImplEZZZNS4_16geometric_kernelIS9_EEvRNS_18TensorIteratorBaseEdT_ENKUlvE_clEvENKUlvE7_clEvEUlfE_EEvSC_T1_T2_EUlP25hiprandStatePhilox4_32_10E_ZNS1_27distribution_nullary_kernelIS7_f15HIP_vector_typeIdLj2EES9_SL_SG_EEvSC_SI_RKT3_T4_EUlifE0_EEvlNS_15PhiloxCudaStateESH_SI_
		.amdhsa_group_segment_fixed_size 0
		.amdhsa_private_segment_fixed_size 0
		.amdhsa_kernarg_size 584
		.amdhsa_user_sgpr_count 6
		.amdhsa_user_sgpr_private_segment_buffer 1
		.amdhsa_user_sgpr_dispatch_ptr 0
		.amdhsa_user_sgpr_queue_ptr 0
		.amdhsa_user_sgpr_kernarg_segment_ptr 1
		.amdhsa_user_sgpr_dispatch_id 0
		.amdhsa_user_sgpr_flat_scratch_init 0
		.amdhsa_user_sgpr_kernarg_preload_length 0
		.amdhsa_user_sgpr_kernarg_preload_offset 0
		.amdhsa_user_sgpr_private_segment_size 0
		.amdhsa_uses_dynamic_stack 0
		.amdhsa_system_sgpr_private_segment_wavefront_offset 0
		.amdhsa_system_sgpr_workgroup_id_x 1
		.amdhsa_system_sgpr_workgroup_id_y 0
		.amdhsa_system_sgpr_workgroup_id_z 0
		.amdhsa_system_sgpr_workgroup_info 0
		.amdhsa_system_vgpr_workitem_id 0
		.amdhsa_next_free_vgpr 46
		.amdhsa_next_free_sgpr 71
		.amdhsa_accum_offset 48
		.amdhsa_reserve_vcc 1
		.amdhsa_reserve_flat_scratch 0
		.amdhsa_float_round_mode_32 0
		.amdhsa_float_round_mode_16_64 0
		.amdhsa_float_denorm_mode_32 3
		.amdhsa_float_denorm_mode_16_64 3
		.amdhsa_dx10_clamp 1
		.amdhsa_ieee_mode 1
		.amdhsa_fp16_overflow 0
		.amdhsa_tg_split 0
		.amdhsa_exception_fp_ieee_invalid_op 0
		.amdhsa_exception_fp_denorm_src 0
		.amdhsa_exception_fp_ieee_div_zero 0
		.amdhsa_exception_fp_ieee_overflow 0
		.amdhsa_exception_fp_ieee_underflow 0
		.amdhsa_exception_fp_ieee_inexact 0
		.amdhsa_exception_int_div_zero 0
	.end_amdhsa_kernel
	.section	.text._ZN2at6native12_GLOBAL__N_143distribution_elementwise_grid_stride_kernelIfLi4EZNS0_9templates4cuda21uniform_and_transformIN3c108BFloat16EfPNS_17CUDAGeneratorImplEZZZNS4_16geometric_kernelIS9_EEvRNS_18TensorIteratorBaseEdT_ENKUlvE_clEvENKUlvE7_clEvEUlfE_EEvSC_T1_T2_EUlP25hiprandStatePhilox4_32_10E_ZNS1_27distribution_nullary_kernelIS7_f15HIP_vector_typeIdLj2EES9_SL_SG_EEvSC_SI_RKT3_T4_EUlifE0_EEvlNS_15PhiloxCudaStateESH_SI_,"axG",@progbits,_ZN2at6native12_GLOBAL__N_143distribution_elementwise_grid_stride_kernelIfLi4EZNS0_9templates4cuda21uniform_and_transformIN3c108BFloat16EfPNS_17CUDAGeneratorImplEZZZNS4_16geometric_kernelIS9_EEvRNS_18TensorIteratorBaseEdT_ENKUlvE_clEvENKUlvE7_clEvEUlfE_EEvSC_T1_T2_EUlP25hiprandStatePhilox4_32_10E_ZNS1_27distribution_nullary_kernelIS7_f15HIP_vector_typeIdLj2EES9_SL_SG_EEvSC_SI_RKT3_T4_EUlifE0_EEvlNS_15PhiloxCudaStateESH_SI_,comdat
.Lfunc_end33:
	.size	_ZN2at6native12_GLOBAL__N_143distribution_elementwise_grid_stride_kernelIfLi4EZNS0_9templates4cuda21uniform_and_transformIN3c108BFloat16EfPNS_17CUDAGeneratorImplEZZZNS4_16geometric_kernelIS9_EEvRNS_18TensorIteratorBaseEdT_ENKUlvE_clEvENKUlvE7_clEvEUlfE_EEvSC_T1_T2_EUlP25hiprandStatePhilox4_32_10E_ZNS1_27distribution_nullary_kernelIS7_f15HIP_vector_typeIdLj2EES9_SL_SG_EEvSC_SI_RKT3_T4_EUlifE0_EEvlNS_15PhiloxCudaStateESH_SI_, .Lfunc_end33-_ZN2at6native12_GLOBAL__N_143distribution_elementwise_grid_stride_kernelIfLi4EZNS0_9templates4cuda21uniform_and_transformIN3c108BFloat16EfPNS_17CUDAGeneratorImplEZZZNS4_16geometric_kernelIS9_EEvRNS_18TensorIteratorBaseEdT_ENKUlvE_clEvENKUlvE7_clEvEUlfE_EEvSC_T1_T2_EUlP25hiprandStatePhilox4_32_10E_ZNS1_27distribution_nullary_kernelIS7_f15HIP_vector_typeIdLj2EES9_SL_SG_EEvSC_SI_RKT3_T4_EUlifE0_EEvlNS_15PhiloxCudaStateESH_SI_
                                        ; -- End function
	.section	.AMDGPU.csdata,"",@progbits
; Kernel info:
; codeLenInByte = 5624
; NumSgprs: 75
; NumVgprs: 46
; NumAgprs: 0
; TotalNumVgprs: 46
; ScratchSize: 0
; MemoryBound: 0
; FloatMode: 240
; IeeeMode: 1
; LDSByteSize: 0 bytes/workgroup (compile time only)
; SGPRBlocks: 9
; VGPRBlocks: 5
; NumSGPRsForWavesPerEU: 75
; NumVGPRsForWavesPerEU: 46
; AccumOffset: 48
; Occupancy: 8
; WaveLimiterHint : 1
; COMPUTE_PGM_RSRC2:SCRATCH_EN: 0
; COMPUTE_PGM_RSRC2:USER_SGPR: 6
; COMPUTE_PGM_RSRC2:TRAP_HANDLER: 0
; COMPUTE_PGM_RSRC2:TGID_X_EN: 1
; COMPUTE_PGM_RSRC2:TGID_Y_EN: 0
; COMPUTE_PGM_RSRC2:TGID_Z_EN: 0
; COMPUTE_PGM_RSRC2:TIDIG_COMP_CNT: 0
; COMPUTE_PGM_RSRC3_GFX90A:ACCUM_OFFSET: 11
; COMPUTE_PGM_RSRC3_GFX90A:TG_SPLIT: 0
	.section	.text._ZN2at6native12_GLOBAL__N_143distribution_elementwise_grid_stride_kernelIfLi4EZNS0_9templates4cuda21uniform_and_transformIN3c108BFloat16EfPNS_17CUDAGeneratorImplEZZZNS4_16geometric_kernelIS9_EEvRNS_18TensorIteratorBaseEdT_ENKUlvE_clEvENKUlvE7_clEvEUlfE_EEvSC_T1_T2_EUlP25hiprandStatePhilox4_32_10E0_ZNS1_27distribution_nullary_kernelIS7_f15HIP_vector_typeIfLj4EES9_SL_SG_EEvSC_SI_RKT3_T4_EUlifE_EEvlNS_15PhiloxCudaStateESH_SI_,"axG",@progbits,_ZN2at6native12_GLOBAL__N_143distribution_elementwise_grid_stride_kernelIfLi4EZNS0_9templates4cuda21uniform_and_transformIN3c108BFloat16EfPNS_17CUDAGeneratorImplEZZZNS4_16geometric_kernelIS9_EEvRNS_18TensorIteratorBaseEdT_ENKUlvE_clEvENKUlvE7_clEvEUlfE_EEvSC_T1_T2_EUlP25hiprandStatePhilox4_32_10E0_ZNS1_27distribution_nullary_kernelIS7_f15HIP_vector_typeIfLj4EES9_SL_SG_EEvSC_SI_RKT3_T4_EUlifE_EEvlNS_15PhiloxCudaStateESH_SI_,comdat
	.globl	_ZN2at6native12_GLOBAL__N_143distribution_elementwise_grid_stride_kernelIfLi4EZNS0_9templates4cuda21uniform_and_transformIN3c108BFloat16EfPNS_17CUDAGeneratorImplEZZZNS4_16geometric_kernelIS9_EEvRNS_18TensorIteratorBaseEdT_ENKUlvE_clEvENKUlvE7_clEvEUlfE_EEvSC_T1_T2_EUlP25hiprandStatePhilox4_32_10E0_ZNS1_27distribution_nullary_kernelIS7_f15HIP_vector_typeIfLj4EES9_SL_SG_EEvSC_SI_RKT3_T4_EUlifE_EEvlNS_15PhiloxCudaStateESH_SI_ ; -- Begin function _ZN2at6native12_GLOBAL__N_143distribution_elementwise_grid_stride_kernelIfLi4EZNS0_9templates4cuda21uniform_and_transformIN3c108BFloat16EfPNS_17CUDAGeneratorImplEZZZNS4_16geometric_kernelIS9_EEvRNS_18TensorIteratorBaseEdT_ENKUlvE_clEvENKUlvE7_clEvEUlfE_EEvSC_T1_T2_EUlP25hiprandStatePhilox4_32_10E0_ZNS1_27distribution_nullary_kernelIS7_f15HIP_vector_typeIfLj4EES9_SL_SG_EEvSC_SI_RKT3_T4_EUlifE_EEvlNS_15PhiloxCudaStateESH_SI_
	.p2align	8
	.type	_ZN2at6native12_GLOBAL__N_143distribution_elementwise_grid_stride_kernelIfLi4EZNS0_9templates4cuda21uniform_and_transformIN3c108BFloat16EfPNS_17CUDAGeneratorImplEZZZNS4_16geometric_kernelIS9_EEvRNS_18TensorIteratorBaseEdT_ENKUlvE_clEvENKUlvE7_clEvEUlfE_EEvSC_T1_T2_EUlP25hiprandStatePhilox4_32_10E0_ZNS1_27distribution_nullary_kernelIS7_f15HIP_vector_typeIfLj4EES9_SL_SG_EEvSC_SI_RKT3_T4_EUlifE_EEvlNS_15PhiloxCudaStateESH_SI_,@function
_ZN2at6native12_GLOBAL__N_143distribution_elementwise_grid_stride_kernelIfLi4EZNS0_9templates4cuda21uniform_and_transformIN3c108BFloat16EfPNS_17CUDAGeneratorImplEZZZNS4_16geometric_kernelIS9_EEvRNS_18TensorIteratorBaseEdT_ENKUlvE_clEvENKUlvE7_clEvEUlfE_EEvSC_T1_T2_EUlP25hiprandStatePhilox4_32_10E0_ZNS1_27distribution_nullary_kernelIS7_f15HIP_vector_typeIfLj4EES9_SL_SG_EEvSC_SI_RKT3_T4_EUlifE_EEvlNS_15PhiloxCudaStateESH_SI_: ; @_ZN2at6native12_GLOBAL__N_143distribution_elementwise_grid_stride_kernelIfLi4EZNS0_9templates4cuda21uniform_and_transformIN3c108BFloat16EfPNS_17CUDAGeneratorImplEZZZNS4_16geometric_kernelIS9_EEvRNS_18TensorIteratorBaseEdT_ENKUlvE_clEvENKUlvE7_clEvEUlfE_EEvSC_T1_T2_EUlP25hiprandStatePhilox4_32_10E0_ZNS1_27distribution_nullary_kernelIS7_f15HIP_vector_typeIfLj4EES9_SL_SG_EEvSC_SI_RKT3_T4_EUlifE_EEvlNS_15PhiloxCudaStateESH_SI_
; %bb.0:
	s_load_dword s2, s[4:5], 0x20
	s_load_dwordx2 s[0:1], s[4:5], 0x10
	s_load_dwordx4 s[8:11], s[4:5], 0x0
	s_waitcnt lgkmcnt(0)
	s_bitcmp0_b32 s2, 0
	s_mov_b32 s2, 0
	v_pk_mov_b32 v[2:3], s[0:1], s[0:1] op_sel:[0,1]
	v_pk_mov_b32 v[14:15], s[10:11], s[10:11] op_sel:[0,1]
	s_cbranch_scc1 .LBB34_2
; %bb.1:
	v_pk_mov_b32 v[2:3], s[0:1], s[0:1] op_sel:[0,1]
	flat_load_dwordx2 v[2:3], v[2:3]
	v_pk_mov_b32 v[4:5], s[10:11], s[10:11] op_sel:[0,1]
	flat_load_dwordx2 v[14:15], v[4:5]
	s_load_dwordx2 s[0:1], s[4:5], 0x18
	s_waitcnt lgkmcnt(0)
	v_mov_b32_e32 v1, s1
	s_waitcnt vmcnt(0)
	v_add_co_u32_e32 v2, vcc, s0, v2
	v_addc_co_u32_e32 v3, vcc, v3, v1, vcc
.LBB34_2:
	s_load_dword s0, s[4:5], 0x54
	s_load_dword s21, s[4:5], 0x48
	s_waitcnt lgkmcnt(0)
	s_and_b32 s7, s0, 0xffff
	s_add_u32 s10, s8, -1
	s_mul_i32 s12, s21, s7
	s_addc_u32 s3, s9, -1
	s_lshl_b32 s13, s12, 2
	s_cmp_lg_u64 s[2:3], 0
	s_mov_b64 s[0:1], -1
	s_cbranch_scc0 .LBB34_27
; %bb.3:
	v_cvt_f32_u32_e32 v1, s13
	v_cvt_f32_ubyte0_e32 v4, 0
	s_sub_u32 s2, 0, s13
	s_subb_u32 s11, 0, 0
	v_madmk_f32 v1, v4, 0x4f800000, v1
	v_rcp_f32_e32 v1, v1
	v_mul_f32_e32 v1, 0x5f7ffffc, v1
	v_mul_f32_e32 v4, 0x2f800000, v1
	v_trunc_f32_e32 v4, v4
	v_madmk_f32 v1, v4, 0xcf800000, v1
	v_cvt_u32_f32_e32 v4, v4
	v_cvt_u32_f32_e32 v1, v1
	v_readfirstlane_b32 s14, v4
	v_readfirstlane_b32 s15, v1
	s_mul_i32 s16, s2, s14
	s_mul_hi_u32 s18, s2, s15
	s_mul_i32 s17, s11, s15
	s_add_i32 s16, s18, s16
	s_add_i32 s16, s16, s17
	s_mul_i32 s19, s2, s15
	s_mul_hi_u32 s17, s15, s16
	s_mul_i32 s18, s15, s16
	s_mul_hi_u32 s15, s15, s19
	s_add_u32 s15, s15, s18
	s_addc_u32 s17, 0, s17
	s_mul_hi_u32 s20, s14, s19
	s_mul_i32 s19, s14, s19
	s_add_u32 s15, s15, s19
	s_mul_hi_u32 s18, s14, s16
	s_addc_u32 s15, s17, s20
	s_addc_u32 s17, s18, 0
	s_mul_i32 s16, s14, s16
	s_add_u32 s15, s15, s16
	s_addc_u32 s16, 0, s17
	v_add_co_u32_e32 v1, vcc, s15, v1
	s_cmp_lg_u64 vcc, 0
	s_addc_u32 s14, s14, s16
	v_readfirstlane_b32 s16, v1
	s_mul_i32 s15, s2, s14
	s_mul_hi_u32 s17, s2, s16
	s_add_i32 s15, s17, s15
	s_mul_i32 s11, s11, s16
	s_add_i32 s15, s15, s11
	s_mul_i32 s2, s2, s16
	s_mul_hi_u32 s17, s14, s2
	s_mul_i32 s18, s14, s2
	s_mul_i32 s20, s16, s15
	s_mul_hi_u32 s2, s16, s2
	s_mul_hi_u32 s19, s16, s15
	s_add_u32 s2, s2, s20
	s_addc_u32 s16, 0, s19
	s_add_u32 s2, s2, s18
	s_mul_hi_u32 s11, s14, s15
	s_addc_u32 s2, s16, s17
	s_addc_u32 s11, s11, 0
	s_mul_i32 s15, s14, s15
	s_add_u32 s2, s2, s15
	s_addc_u32 s11, 0, s11
	v_add_co_u32_e32 v1, vcc, s2, v1
	s_cmp_lg_u64 vcc, 0
	s_addc_u32 s11, s14, s11
	s_ashr_i32 s14, s3, 31
	s_add_u32 s2, s10, s14
	s_mov_b32 s15, s14
	s_addc_u32 s3, s3, s14
	s_xor_b64 s[2:3], s[2:3], s[14:15]
	v_readfirstlane_b32 s18, v1
	s_mul_i32 s17, s2, s11
	s_mul_hi_u32 s19, s2, s18
	s_mul_hi_u32 s16, s2, s11
	s_add_u32 s17, s19, s17
	s_addc_u32 s16, 0, s16
	s_mul_hi_u32 s20, s3, s18
	s_mul_i32 s18, s3, s18
	s_add_u32 s17, s17, s18
	s_mul_hi_u32 s19, s3, s11
	s_addc_u32 s16, s16, s20
	s_addc_u32 s17, s19, 0
	s_mul_i32 s11, s3, s11
	s_add_u32 s11, s16, s11
	s_addc_u32 s16, 0, s17
	s_add_u32 s17, s11, 1
	s_addc_u32 s18, s16, 0
	s_add_u32 s19, s11, 2
	s_mul_i32 s22, s13, s16
	s_mul_hi_u32 s23, s13, s11
	s_addc_u32 s20, s16, 0
	s_add_i32 s23, s23, s22
	s_mul_i32 s22, s13, s11
	v_mov_b32_e32 v1, s22
	v_sub_co_u32_e32 v1, vcc, s2, v1
	s_cmp_lg_u64 vcc, 0
	s_subb_u32 s2, s3, s23
	v_subrev_co_u32_e32 v4, vcc, s13, v1
	s_cmp_lg_u64 vcc, 0
	s_subb_u32 s3, s2, 0
	v_readfirstlane_b32 s22, v4
	s_cmp_ge_u32 s22, s13
	s_cselect_b32 s22, -1, 0
	s_cmp_eq_u32 s3, 0
	s_cselect_b32 s3, s22, -1
	s_cmp_lg_u32 s3, 0
	s_cselect_b32 s3, s20, s18
	v_readfirstlane_b32 s18, v1
	s_cselect_b32 s17, s19, s17
	s_cmp_ge_u32 s18, s13
	s_cselect_b32 s18, -1, 0
	s_cmp_eq_u32 s2, 0
	s_cselect_b32 s2, s18, -1
	s_cmp_lg_u32 s2, 0
	s_cselect_b32 s3, s3, s16
	s_cselect_b32 s2, s17, s11
	s_xor_b64 s[2:3], s[2:3], s[14:15]
	s_sub_u32 s2, s2, s14
	s_subb_u32 s3, s3, s14
	s_cbranch_execnz .LBB34_5
.LBB34_4:
	v_cvt_f32_u32_e32 v1, s13
	s_sub_i32 s0, 0, s13
	s_mov_b32 s3, 0
	v_rcp_iflag_f32_e32 v1, v1
	v_mul_f32_e32 v1, 0x4f7ffffe, v1
	v_cvt_u32_f32_e32 v1, v1
	v_readfirstlane_b32 s1, v1
	s_mul_i32 s0, s0, s1
	s_mul_hi_u32 s0, s1, s0
	s_add_i32 s1, s1, s0
	s_mul_hi_u32 s0, s10, s1
	s_mul_i32 s2, s0, s13
	s_sub_i32 s2, s10, s2
	s_add_i32 s1, s0, 1
	s_sub_i32 s10, s2, s13
	s_cmp_ge_u32 s2, s13
	s_cselect_b32 s0, s1, s0
	s_cselect_b32 s2, s10, s2
	s_add_i32 s1, s0, 1
	s_cmp_ge_u32 s2, s13
	s_cselect_b32 s2, s1, s0
.LBB34_5:
	v_mov_b32_e32 v1, 0
	v_mov_b32_e32 v4, s6
	v_mad_u64_u32 v[16:17], s[0:1], s7, v4, v[0:1]
	s_add_u32 s0, s2, 1
	s_addc_u32 s1, s3, 0
	s_mul_hi_u32 s2, s21, s7
	s_mul_i32 s1, s12, s1
	s_mul_hi_u32 s3, s12, s0
	s_add_i32 s1, s3, s1
	s_mul_i32 s2, s2, s0
	s_add_i32 s1, s1, s2
	s_mul_i32 s0, s12, s0
	s_lshl_b64 s[2:3], s[0:1], 2
	v_cmp_gt_i64_e32 vcc, s[2:3], v[16:17]
	s_and_saveexec_b64 s[0:1], vcc
	s_cbranch_execz .LBB34_26
; %bb.6:
	s_load_dwordx2 s[10:11], s[4:5], 0x30
	s_load_dword s23, s[4:5], 0x38
	s_load_dwordx2 s[0:1], s[4:5], 0x40
	s_mov_b32 s4, 0x5384540f
	v_mov_b32_e32 v4, v15
	v_add_co_u32_e32 v22, vcc, s4, v14
	s_mov_b32 s4, 0x646e171e
	v_add_co_u32_e32 v23, vcc, s4, v4
	s_mov_b32 s4, 0x1715609d
	;; [unrolled: 2-line block ×6, first 2 shown]
	v_alignbit_b32 v29, v3, v2, 2
	s_mov_b32 s15, 0xd2511f53
	v_add_co_u32_e32 v28, vcc, s4, v14
	v_mad_u64_u32 v[6:7], s[4:5], v29, s15, 0
	v_xor_b32_e32 v1, v7, v15
	v_xor_b32_e32 v1, v1, v17
	s_mov_b32 s16, 0xcd9e8d57
	v_mad_u64_u32 v[8:9], s[4:5], v1, s16, 0
	v_xor_b32_e32 v1, v28, v9
	v_mad_u64_u32 v[10:11], s[4:5], v16, s16, 0
	v_and_b32_e32 v18, 3, v2
	v_xor_b32_e32 v1, v1, v10
	v_xor_b32_e32 v2, v14, v11
	v_lshrrev_b32_e32 v30, 2, v3
	v_mad_u64_u32 v[12:13], s[4:5], v1, s15, 0
	v_xor_b32_e32 v2, v2, v30
	v_xor_b32_e32 v1, v27, v13
	v_mad_u64_u32 v[2:3], s[4:5], v2, s15, 0
	v_xor_b32_e32 v1, v1, v2
	v_mad_u64_u32 v[10:11], s[4:5], v1, s16, 0
	s_mov_b32 s4, 0xbb67ae85
	v_add_co_u32_e32 v31, vcc, s4, v4
	v_xor_b32_e32 v2, v31, v3
	v_xor_b32_e32 v2, v2, v6
	v_xor_b32_e32 v1, v26, v11
	v_mad_u64_u32 v[2:3], s[4:5], v2, s16, 0
	v_xor_b32_e32 v1, v1, v2
	v_mad_u64_u32 v[6:7], s[4:5], v1, s15, 0
	s_mov_b32 s4, 0x3c6ef372
	v_add_co_u32_e32 v32, vcc, s4, v14
	v_xor_b32_e32 v2, v32, v3
	;; [unrolled: 8-line block ×6, first 2 shown]
	v_add_co_u32_e32 v21, vcc, 0xdb3d7428, v4
	v_xor_b32_e32 v2, v2, v8
	v_xor_b32_e32 v1, v21, v7
	v_mad_u64_u32 v[2:3], s[4:5], v2, s15, 0
	v_xor_b32_e32 v1, v1, v2
	v_mad_u64_u32 v[8:9], s[4:5], v1, s16, 0
	s_mov_b32 s4, 0x1fd5c5a3
	v_add_co_u32_e32 v37, vcc, s4, v4
	v_xor_b32_e32 v1, v37, v3
	v_xor_b32_e32 v1, v1, v12
	v_mad_u64_u32 v[2:3], s[4:5], v1, s16, 0
	s_mov_b32 s4, 0xf1bbcdc8
	v_add_u32_e32 v19, 0x8ff34781, v14
	v_xor_b32_e32 v1, v9, v2
	v_add_co_u32_e32 v38, vcc, s4, v14
	v_xor_b32_e32 v2, v19, v1
	v_xor_b32_e32 v1, v38, v3
	;; [unrolled: 1-line block ×3, first 2 shown]
	v_mad_u64_u32 v[10:11], s[4:5], v1, s15, 0
	v_add_u32_e32 v20, 0x96a522ad, v15
	v_xor_b32_e32 v1, v11, v6
	v_xor_b32_e32 v4, v20, v1
	s_waitcnt lgkmcnt(0)
	v_cvt_f32_f64_e32 v1, s[0:1]
	v_mov_b32_e32 v3, v8
	v_sub_f32_e32 v8, 1.0, v1
	v_add_f32_e32 v6, -1.0, v8
	v_sub_f32_e32 v7, v6, v8
	v_add_f32_e32 v7, 1.0, v7
	v_sub_f32_e64 v6, -v1, v6
	v_mov_b32_e32 v5, v10
	v_add_f32_e32 v9, v6, v7
	v_frexp_mant_f32_e32 v10, v8
	s_mov_b32 s0, 0x3f2aaaab
	v_cvt_f64_f32_e32 v[6:7], v8
	v_frexp_exp_i32_f64_e32 v6, v[6:7]
	v_cmp_gt_f32_e32 vcc, s0, v10
	v_subbrev_co_u32_e32 v6, vcc, 0, v6, vcc
	v_sub_u32_e32 v7, 0, v6
	v_ldexp_f32 v8, v8, v7
	v_ldexp_f32 v7, v9, v7
	v_add_f32_e32 v9, -1.0, v8
	v_add_f32_e32 v12, 1.0, v8
	v_add_f32_e32 v10, 1.0, v9
	v_add_f32_e32 v13, -1.0, v12
	v_sub_f32_e32 v10, v8, v10
	v_sub_f32_e32 v8, v8, v13
	v_add_f32_e32 v10, v7, v10
	v_add_f32_e32 v7, v7, v8
	;; [unrolled: 1-line block ×3, first 2 shown]
	v_rcp_f32_e32 v13, v8
	v_add_f32_e32 v11, v9, v10
	v_sub_f32_e32 v9, v11, v9
	v_sub_f32_e32 v9, v10, v9
	;; [unrolled: 1-line block ×4, first 2 shown]
	v_mul_f32_e32 v10, v11, v13
	v_mul_f32_e32 v12, v8, v10
	v_fma_f32 v39, v10, v8, -v12
	v_fmac_f32_e32 v39, v10, v7
	v_add_f32_e32 v40, v12, v39
	v_sub_f32_e32 v41, v11, v40
	v_sub_f32_e32 v11, v11, v41
	;; [unrolled: 1-line block ×4, first 2 shown]
	v_add_f32_e32 v9, v9, v11
	v_sub_f32_e32 v11, v12, v39
	v_add_f32_e32 v9, v11, v9
	v_add_f32_e32 v11, v41, v9
	v_mul_f32_e32 v12, v13, v11
	v_mul_f32_e32 v39, v8, v12
	v_fma_f32 v8, v12, v8, -v39
	v_fmac_f32_e32 v8, v12, v7
	v_sub_f32_e32 v7, v41, v11
	v_add_f32_e32 v7, v9, v7
	v_add_f32_e32 v9, v39, v8
	v_sub_f32_e32 v40, v11, v9
	v_sub_f32_e32 v11, v11, v40
	;; [unrolled: 1-line block ×4, first 2 shown]
	v_add_f32_e32 v7, v7, v9
	v_sub_f32_e32 v8, v39, v8
	v_add_f32_e32 v7, v8, v7
	v_add_f32_e32 v8, v10, v12
	;; [unrolled: 1-line block ×3, first 2 shown]
	v_sub_f32_e32 v9, v8, v10
	v_mul_f32_e32 v7, v13, v7
	v_sub_f32_e32 v9, v12, v9
	v_add_f32_e32 v7, v9, v7
	v_cvt_f32_i32_e32 v6, v6
	v_add_f32_e32 v9, v8, v7
	v_mul_f32_e32 v10, v9, v9
	v_mov_b32_e32 v11, 0x3ecc95a3
	v_fmac_f32_e32 v11, 0x3e9b6dac, v10
	v_mov_b32_e32 v12, 0x3f2aaada
	v_fmac_f32_e32 v12, v10, v11
	s_mov_b32 s0, 0x3f317218
	v_mul_f32_e32 v11, 0x3f317218, v6
	v_fma_f32 v13, v6, s0, -v11
	v_fmac_f32_e32 v13, 0xb102e308, v6
	v_sub_f32_e32 v6, v9, v8
	v_sub_f32_e32 v6, v7, v6
	v_add_f32_e32 v7, v11, v13
	v_sub_f32_e32 v8, v7, v11
	v_ldexp_f32 v11, v9, 1
	v_mul_f32_e32 v9, v9, v10
	v_mul_f32_e32 v9, v9, v12
	v_add_f32_e32 v10, v11, v9
	v_sub_f32_e32 v11, v10, v11
	v_ldexp_f32 v6, v6, 1
	v_sub_f32_e32 v9, v9, v11
	v_add_f32_e32 v6, v6, v9
	v_add_f32_e32 v9, v10, v6
	v_sub_f32_e32 v10, v9, v10
	v_sub_f32_e32 v6, v6, v10
	v_add_f32_e32 v10, v7, v9
	v_sub_f32_e32 v11, v10, v7
	v_sub_f32_e32 v12, v10, v11
	v_sub_f32_e32 v8, v13, v8
	v_sub_f32_e32 v7, v7, v12
	v_sub_f32_e32 v9, v9, v11
	v_add_f32_e32 v7, v9, v7
	v_add_f32_e32 v9, v8, v6
	v_sub_f32_e32 v11, v9, v8
	v_sub_f32_e32 v12, v9, v11
	;; [unrolled: 1-line block ×4, first 2 shown]
	v_add_f32_e32 v7, v9, v7
	v_add_f32_e32 v6, v6, v8
	;; [unrolled: 1-line block ×3, first 2 shown]
	v_sub_f32_e32 v9, v8, v10
	v_sub_f32_e32 v7, v7, v9
	v_add_f32_e32 v6, v6, v7
	s_mov_b32 s0, 0xff800000
	v_add_f32_e32 v6, v8, v6
	v_cmp_eq_f32_e32 vcc, s0, v1
	v_cndmask_b32_e64 v6, v6, -v1, vcc
	v_mov_b32_e32 v7, 0x7fc00000
	v_cmp_nlt_f32_e32 vcc, 1.0, v1
	v_cndmask_b32_e32 v6, v7, v6, vcc
	v_mov_b32_e32 v7, 0xff800000
	v_cmp_neq_f32_e32 vcc, 1.0, v1
	s_mov_b32 s0, 0x33800000
	v_cndmask_b32_e32 v6, v7, v6, vcc
	v_cmp_lt_f32_e64 s[0:1], |v1|, s0
	v_cndmask_b32_e64 v39, v6, -v1, s[0:1]
	s_mul_i32 s0, s6, s7
	v_add_u32_e32 v1, s0, v0
	s_mul_i32 s0, s21, s23
	s_mul_i32 s0, s0, s7
	s_lshl_b32 s22, s0, 2
	s_mul_i32 s0, s21, 3
	s_add_i32 s0, s6, s0
	s_mul_i32 s0, s0, s7
	v_mul_lo_u32 v40, s23, v1
	v_add_u32_e32 v1, s0, v0
	s_lshl_b32 s0, s21, 1
	s_add_i32 s0, s6, s0
	s_mul_i32 s0, s0, s7
	v_mul_lo_u32 v41, s23, v1
	v_add_u32_e32 v1, s0, v0
	s_add_i32 s0, s6, s21
	s_mul_i32 s0, s0, s7
	s_mov_b32 s14, 0
	v_add_u32_e32 v0, s0, v0
	s_lshl_b32 s17, s12, 1
	s_mov_b32 s18, s14
	s_mul_i32 s19, s12, 3
	s_mov_b32 s20, s14
	v_mul_lo_u32 v42, s23, v1
	v_mul_lo_u32 v43, s23, v0
	s_mov_b64 s[4:5], 0
	s_mov_b32 s21, 0x800000
	s_mov_b32 s23, 0x3f317217
	;; [unrolled: 1-line block ×3, first 2 shown]
	s_movk_i32 s25, 0x7fff
	v_mov_b32_e32 v44, 0x4f800000
	v_mov_b32_e32 v45, 0x41b17218
	;; [unrolled: 1-line block ×3, first 2 shown]
	s_mov_b32 s26, s14
	v_mov_b32_e32 v47, v16
	v_mov_b32_e32 v48, v17
	s_branch .LBB34_8
.LBB34_7:                               ;   in Loop: Header=BB34_8 Depth=1
	s_or_b64 exec, exec, s[6:7]
	v_add_co_u32_e32 v16, vcc, s13, v16
	v_addc_co_u32_e32 v17, vcc, 0, v17, vcc
	v_mov_b32_e32 v9, v0
	s_add_i32 s26, s26, s22
	v_cmp_le_i64_e32 vcc, s[2:3], v[16:17]
	v_pk_mov_b32 v[2:3], v[6:7], v[6:7] op_sel:[0,1]
	s_or_b64 s[4:5], vcc, s[4:5]
	v_pk_mov_b32 v[4:5], v[8:9], v[8:9] op_sel:[0,1]
	s_barrier
	s_andn2_b64 exec, exec, s[4:5]
	s_cbranch_execz .LBB34_26
.LBB34_8:                               ; =>This Inner Loop Header: Depth=1
	v_add_co_u32_e32 v29, vcc, 1, v29
	v_cndmask_b32_e64 v0, 0, 1, vcc
	v_addc_co_u32_e32 v30, vcc, 0, v30, vcc
	v_cmp_eq_u32_e32 vcc, 0, v30
	v_cndmask_b32_e32 v0, 0, v0, vcc
	v_add_u32_e32 v47, v0, v47
	v_cmp_eq_u32_e32 vcc, 0, v47
	v_cndmask_b32_e32 v0, 0, v0, vcc
	v_add_u32_e32 v48, v0, v48
	v_mad_u64_u32 v[0:1], s[0:1], v29, s15, 0
	v_mad_u64_u32 v[6:7], s[0:1], v47, s16, 0
	v_xor_b32_e32 v1, v1, v15
	v_xor_b32_e32 v7, v7, v14
	v_xor_b32_e32 v1, v48, v1
	v_xor_b32_e32 v7, v30, v7
	v_mad_u64_u32 v[10:11], s[0:1], v1, s16, 0
	v_mad_u64_u32 v[8:9], s[0:1], v7, s15, 0
	v_xor_b32_e32 v1, v28, v11
	v_xor_b32_e32 v1, v1, v6
	v_xor_b32_e32 v6, v31, v9
	v_xor_b32_e32 v6, v6, v0
	;; [unrolled: 6-line block ×10, first 2 shown]
	v_mov_b32_e32 v7, v12
	v_mov_b32_e32 v8, v13
	v_cmp_lt_i32_e32 vcc, 1, v18
	s_and_saveexec_b64 s[0:1], vcc
	s_xor_b64 s[0:1], exec, s[0:1]
	s_cbranch_execnz .LBB34_18
; %bb.9:                                ;   in Loop: Header=BB34_8 Depth=1
	s_andn2_saveexec_b64 s[0:1], s[0:1]
	s_cbranch_execnz .LBB34_23
.LBB34_10:                              ;   in Loop: Header=BB34_8 Depth=1
	s_or_b64 exec, exec, s[0:1]
	v_cmp_gt_i64_e32 vcc, s[8:9], v[16:17]
	s_and_saveexec_b64 s[6:7], vcc
	s_cbranch_execz .LBB34_12
.LBB34_11:                              ;   in Loop: Header=BB34_8 Depth=1
	v_cvt_f32_u32_e32 v1, v2
	v_mov_b32_e32 v2, 0x2f800000
	v_mov_b32_e32 v9, s11
	v_fmac_f32_e32 v2, 0x2f800000, v1
	v_cmp_gt_f32_e32 vcc, s21, v2
	v_cndmask_b32_e32 v1, 1.0, v44, vcc
	v_mul_f32_e32 v1, v2, v1
	v_log_f32_e32 v1, v1
	v_add_u32_e32 v2, s26, v40
	v_ashrrev_i32_e32 v11, 31, v2
	v_mul_f32_e32 v10, 0x3f317217, v1
	v_fma_f32 v12, v1, s23, -v10
	v_fmac_f32_e32 v12, 0x3377d1cf, v1
	v_add_f32_e32 v10, v10, v12
	v_cmp_lt_f32_e64 s[0:1], |v1|, s24
	v_cndmask_b32_e64 v1, v1, v10, s[0:1]
	v_cndmask_b32_e32 v10, 0, v45, vcc
	v_sub_f32_e32 v1, v1, v10
	v_div_scale_f32 v12, s[0:1], v39, v39, v1
	v_rcp_f32_e32 v13, v12
	v_add_co_u32_e32 v10, vcc, s10, v2
	v_addc_co_u32_e32 v11, vcc, v9, v11, vcc
	v_fma_f32 v2, -v12, v13, 1.0
	v_fmac_f32_e32 v13, v2, v13
	v_div_scale_f32 v2, vcc, v1, v39, v1
	v_mul_f32_e32 v9, v2, v13
	v_fma_f32 v49, -v12, v9, v2
	v_fmac_f32_e32 v9, v49, v13
	v_fma_f32 v2, -v12, v9, v2
	v_div_fmas_f32 v2, v2, v13, v9
	v_div_fixup_f32 v1, v2, v39, v1
	v_ceil_f32_e32 v1, v1
	v_bfe_u32 v2, v1, 16, 1
	v_add3_u32 v2, v1, v2, s25
	v_lshrrev_b32_e32 v2, 16, v2
	v_cmp_o_f32_e32 vcc, v1, v1
	v_cndmask_b32_e32 v1, v46, v2, vcc
	global_store_short v[10:11], v1, off
.LBB34_12:                              ;   in Loop: Header=BB34_8 Depth=1
	s_or_b64 exec, exec, s[6:7]
	v_mov_b32_e32 v1, s14
	v_add_co_u32_e32 v10, vcc, s12, v16
	v_addc_co_u32_e32 v11, vcc, v1, v17, vcc
	v_cmp_gt_i64_e32 vcc, s[8:9], v[10:11]
	s_and_saveexec_b64 s[6:7], vcc
	s_cbranch_execz .LBB34_14
; %bb.13:                               ;   in Loop: Header=BB34_8 Depth=1
	v_cvt_f32_u32_e32 v1, v3
	v_mov_b32_e32 v2, 0x2f800000
	v_mov_b32_e32 v3, s11
	v_fmac_f32_e32 v2, 0x2f800000, v1
	v_cmp_gt_f32_e32 vcc, s21, v2
	v_cndmask_b32_e32 v1, 1.0, v44, vcc
	v_mul_f32_e32 v1, v2, v1
	v_log_f32_e32 v1, v1
	v_add_u32_e32 v2, s26, v43
	v_ashrrev_i32_e32 v9, 31, v2
	v_mul_f32_e32 v10, 0x3f317217, v1
	v_fma_f32 v11, v1, s23, -v10
	v_fmac_f32_e32 v11, 0x3377d1cf, v1
	v_add_f32_e32 v10, v10, v11
	v_cmp_lt_f32_e64 s[0:1], |v1|, s24
	v_cndmask_b32_e64 v1, v1, v10, s[0:1]
	v_cndmask_b32_e32 v10, 0, v45, vcc
	v_sub_f32_e32 v1, v1, v10
	v_div_scale_f32 v10, s[0:1], v39, v39, v1
	v_rcp_f32_e32 v11, v10
	v_add_co_u32_e32 v2, vcc, s10, v2
	v_addc_co_u32_e32 v3, vcc, v3, v9, vcc
	v_fma_f32 v9, -v10, v11, 1.0
	v_fmac_f32_e32 v11, v9, v11
	v_div_scale_f32 v9, vcc, v1, v39, v1
	v_mul_f32_e32 v12, v9, v11
	v_fma_f32 v13, -v10, v12, v9
	v_fmac_f32_e32 v12, v13, v11
	v_fma_f32 v9, -v10, v12, v9
	v_div_fmas_f32 v9, v9, v11, v12
	v_div_fixup_f32 v1, v9, v39, v1
	v_ceil_f32_e32 v1, v1
	v_bfe_u32 v9, v1, 16, 1
	v_add3_u32 v9, v1, v9, s25
	v_lshrrev_b32_e32 v9, 16, v9
	v_cmp_o_f32_e32 vcc, v1, v1
	v_cndmask_b32_e32 v1, v46, v9, vcc
	global_store_short v[2:3], v1, off
.LBB34_14:                              ;   in Loop: Header=BB34_8 Depth=1
	s_or_b64 exec, exec, s[6:7]
	v_mov_b32_e32 v1, s18
	v_add_co_u32_e32 v2, vcc, s17, v16
	v_addc_co_u32_e32 v3, vcc, v1, v17, vcc
	v_cmp_gt_i64_e32 vcc, s[8:9], v[2:3]
	s_and_saveexec_b64 s[6:7], vcc
	s_cbranch_execz .LBB34_16
; %bb.15:                               ;   in Loop: Header=BB34_8 Depth=1
	v_cvt_f32_u32_e32 v1, v4
	v_mov_b32_e32 v2, 0x2f800000
	v_mov_b32_e32 v3, s11
	v_fmac_f32_e32 v2, 0x2f800000, v1
	v_cmp_gt_f32_e32 vcc, s21, v2
	v_cndmask_b32_e32 v1, 1.0, v44, vcc
	v_mul_f32_e32 v1, v2, v1
	v_log_f32_e32 v1, v1
	v_add_u32_e32 v2, s26, v42
	v_ashrrev_i32_e32 v4, 31, v2
	v_mul_f32_e32 v9, 0x3f317217, v1
	v_fma_f32 v10, v1, s23, -v9
	v_fmac_f32_e32 v10, 0x3377d1cf, v1
	v_add_f32_e32 v9, v9, v10
	v_cmp_lt_f32_e64 s[0:1], |v1|, s24
	v_cndmask_b32_e64 v1, v1, v9, s[0:1]
	v_cndmask_b32_e32 v9, 0, v45, vcc
	v_sub_f32_e32 v1, v1, v9
	v_div_scale_f32 v9, s[0:1], v39, v39, v1
	v_rcp_f32_e32 v10, v9
	v_add_co_u32_e32 v2, vcc, s10, v2
	v_addc_co_u32_e32 v3, vcc, v3, v4, vcc
	v_fma_f32 v4, -v9, v10, 1.0
	v_fmac_f32_e32 v10, v4, v10
	v_div_scale_f32 v4, vcc, v1, v39, v1
	v_mul_f32_e32 v11, v4, v10
	v_fma_f32 v12, -v9, v11, v4
	v_fmac_f32_e32 v11, v12, v10
	v_fma_f32 v4, -v9, v11, v4
	v_div_fmas_f32 v4, v4, v10, v11
	v_div_fixup_f32 v1, v4, v39, v1
	v_ceil_f32_e32 v1, v1
	v_bfe_u32 v4, v1, 16, 1
	v_add3_u32 v4, v1, v4, s25
	v_lshrrev_b32_e32 v4, 16, v4
	v_cmp_o_f32_e32 vcc, v1, v1
	v_cndmask_b32_e32 v1, v46, v4, vcc
	global_store_short v[2:3], v1, off
.LBB34_16:                              ;   in Loop: Header=BB34_8 Depth=1
	s_or_b64 exec, exec, s[6:7]
	v_mov_b32_e32 v1, s20
	v_add_co_u32_e32 v2, vcc, s19, v16
	v_addc_co_u32_e32 v3, vcc, v1, v17, vcc
	v_cmp_gt_i64_e32 vcc, s[8:9], v[2:3]
	s_and_saveexec_b64 s[6:7], vcc
	s_cbranch_execz .LBB34_7
; %bb.17:                               ;   in Loop: Header=BB34_8 Depth=1
	v_cvt_f32_u32_e32 v1, v5
	v_mov_b32_e32 v2, 0x2f800000
	v_mov_b32_e32 v3, s11
	v_fmac_f32_e32 v2, 0x2f800000, v1
	v_cmp_gt_f32_e32 vcc, s21, v2
	v_cndmask_b32_e32 v1, 1.0, v44, vcc
	v_mul_f32_e32 v1, v2, v1
	v_log_f32_e32 v1, v1
	v_add_u32_e32 v2, s26, v41
	v_ashrrev_i32_e32 v4, 31, v2
	v_mul_f32_e32 v5, 0x3f317217, v1
	v_fma_f32 v9, v1, s23, -v5
	v_fmac_f32_e32 v9, 0x3377d1cf, v1
	v_add_f32_e32 v5, v5, v9
	v_cmp_lt_f32_e64 s[0:1], |v1|, s24
	v_cndmask_b32_e64 v1, v1, v5, s[0:1]
	v_cndmask_b32_e32 v5, 0, v45, vcc
	v_sub_f32_e32 v1, v1, v5
	v_div_scale_f32 v5, s[0:1], v39, v39, v1
	v_rcp_f32_e32 v9, v5
	v_add_co_u32_e32 v2, vcc, s10, v2
	v_addc_co_u32_e32 v3, vcc, v3, v4, vcc
	v_fma_f32 v4, -v5, v9, 1.0
	v_fmac_f32_e32 v9, v4, v9
	v_div_scale_f32 v4, vcc, v1, v39, v1
	v_mul_f32_e32 v10, v4, v9
	v_fma_f32 v11, -v5, v10, v4
	v_fmac_f32_e32 v10, v11, v9
	v_fma_f32 v4, -v5, v10, v4
	v_div_fmas_f32 v4, v4, v9, v10
	v_div_fixup_f32 v1, v4, v39, v1
	v_ceil_f32_e32 v1, v1
	v_bfe_u32 v4, v1, 16, 1
	v_add3_u32 v4, v1, v4, s25
	v_lshrrev_b32_e32 v4, 16, v4
	v_cmp_o_f32_e32 vcc, v1, v1
	v_cndmask_b32_e32 v1, v46, v4, vcc
	global_store_short v[2:3], v1, off
	s_branch .LBB34_7
.LBB34_18:                              ;   in Loop: Header=BB34_8 Depth=1
	v_cmp_lt_i32_e32 vcc, 2, v18
	s_and_saveexec_b64 s[6:7], vcc
	s_xor_b64 s[6:7], exec, s[6:7]
; %bb.19:                               ;   in Loop: Header=BB34_8 Depth=1
	v_mov_b32_e32 v10, v5
	v_mov_b32_e32 v11, v6
	v_pk_mov_b32 v[2:3], v[10:11], v[10:11] op_sel:[0,1]
	v_pk_mov_b32 v[4:5], v[12:13], v[12:13] op_sel:[0,1]
                                        ; implicit-def: $vgpr12_vgpr13
; %bb.20:                               ;   in Loop: Header=BB34_8 Depth=1
	s_andn2_saveexec_b64 s[6:7], s[6:7]
; %bb.21:                               ;   in Loop: Header=BB34_8 Depth=1
	v_mov_b32_e32 v2, v4
	v_mov_b32_e32 v3, v5
	;; [unrolled: 1-line block ×4, first 2 shown]
; %bb.22:                               ;   in Loop: Header=BB34_8 Depth=1
	s_or_b64 exec, exec, s[6:7]
	s_andn2_saveexec_b64 s[0:1], s[0:1]
	s_cbranch_execz .LBB34_10
.LBB34_23:                              ;   in Loop: Header=BB34_8 Depth=1
	v_cmp_eq_u32_e32 vcc, 1, v18
	s_and_saveexec_b64 s[6:7], vcc
; %bb.24:                               ;   in Loop: Header=BB34_8 Depth=1
	v_mov_b32_e32 v2, v3
	v_mov_b32_e32 v3, v4
	;; [unrolled: 1-line block ×4, first 2 shown]
; %bb.25:                               ;   in Loop: Header=BB34_8 Depth=1
	s_or_b64 exec, exec, s[6:7]
	s_or_b64 exec, exec, s[0:1]
	v_cmp_gt_i64_e32 vcc, s[8:9], v[16:17]
	s_and_saveexec_b64 s[6:7], vcc
	s_cbranch_execnz .LBB34_11
	s_branch .LBB34_12
.LBB34_26:
	s_endpgm
.LBB34_27:
                                        ; implicit-def: $sgpr2_sgpr3
	s_andn2_b64 vcc, exec, s[0:1]
	s_cbranch_vccz .LBB34_4
	s_branch .LBB34_5
	.section	.rodata,"a",@progbits
	.p2align	6, 0x0
	.amdhsa_kernel _ZN2at6native12_GLOBAL__N_143distribution_elementwise_grid_stride_kernelIfLi4EZNS0_9templates4cuda21uniform_and_transformIN3c108BFloat16EfPNS_17CUDAGeneratorImplEZZZNS4_16geometric_kernelIS9_EEvRNS_18TensorIteratorBaseEdT_ENKUlvE_clEvENKUlvE7_clEvEUlfE_EEvSC_T1_T2_EUlP25hiprandStatePhilox4_32_10E0_ZNS1_27distribution_nullary_kernelIS7_f15HIP_vector_typeIfLj4EES9_SL_SG_EEvSC_SI_RKT3_T4_EUlifE_EEvlNS_15PhiloxCudaStateESH_SI_
		.amdhsa_group_segment_fixed_size 0
		.amdhsa_private_segment_fixed_size 0
		.amdhsa_kernarg_size 328
		.amdhsa_user_sgpr_count 6
		.amdhsa_user_sgpr_private_segment_buffer 1
		.amdhsa_user_sgpr_dispatch_ptr 0
		.amdhsa_user_sgpr_queue_ptr 0
		.amdhsa_user_sgpr_kernarg_segment_ptr 1
		.amdhsa_user_sgpr_dispatch_id 0
		.amdhsa_user_sgpr_flat_scratch_init 0
		.amdhsa_user_sgpr_kernarg_preload_length 0
		.amdhsa_user_sgpr_kernarg_preload_offset 0
		.amdhsa_user_sgpr_private_segment_size 0
		.amdhsa_uses_dynamic_stack 0
		.amdhsa_system_sgpr_private_segment_wavefront_offset 0
		.amdhsa_system_sgpr_workgroup_id_x 1
		.amdhsa_system_sgpr_workgroup_id_y 0
		.amdhsa_system_sgpr_workgroup_id_z 0
		.amdhsa_system_sgpr_workgroup_info 0
		.amdhsa_system_vgpr_workitem_id 0
		.amdhsa_next_free_vgpr 52
		.amdhsa_next_free_sgpr 27
		.amdhsa_accum_offset 52
		.amdhsa_reserve_vcc 1
		.amdhsa_reserve_flat_scratch 0
		.amdhsa_float_round_mode_32 0
		.amdhsa_float_round_mode_16_64 0
		.amdhsa_float_denorm_mode_32 3
		.amdhsa_float_denorm_mode_16_64 3
		.amdhsa_dx10_clamp 1
		.amdhsa_ieee_mode 1
		.amdhsa_fp16_overflow 0
		.amdhsa_tg_split 0
		.amdhsa_exception_fp_ieee_invalid_op 0
		.amdhsa_exception_fp_denorm_src 0
		.amdhsa_exception_fp_ieee_div_zero 0
		.amdhsa_exception_fp_ieee_overflow 0
		.amdhsa_exception_fp_ieee_underflow 0
		.amdhsa_exception_fp_ieee_inexact 0
		.amdhsa_exception_int_div_zero 0
	.end_amdhsa_kernel
	.section	.text._ZN2at6native12_GLOBAL__N_143distribution_elementwise_grid_stride_kernelIfLi4EZNS0_9templates4cuda21uniform_and_transformIN3c108BFloat16EfPNS_17CUDAGeneratorImplEZZZNS4_16geometric_kernelIS9_EEvRNS_18TensorIteratorBaseEdT_ENKUlvE_clEvENKUlvE7_clEvEUlfE_EEvSC_T1_T2_EUlP25hiprandStatePhilox4_32_10E0_ZNS1_27distribution_nullary_kernelIS7_f15HIP_vector_typeIfLj4EES9_SL_SG_EEvSC_SI_RKT3_T4_EUlifE_EEvlNS_15PhiloxCudaStateESH_SI_,"axG",@progbits,_ZN2at6native12_GLOBAL__N_143distribution_elementwise_grid_stride_kernelIfLi4EZNS0_9templates4cuda21uniform_and_transformIN3c108BFloat16EfPNS_17CUDAGeneratorImplEZZZNS4_16geometric_kernelIS9_EEvRNS_18TensorIteratorBaseEdT_ENKUlvE_clEvENKUlvE7_clEvEUlfE_EEvSC_T1_T2_EUlP25hiprandStatePhilox4_32_10E0_ZNS1_27distribution_nullary_kernelIS7_f15HIP_vector_typeIfLj4EES9_SL_SG_EEvSC_SI_RKT3_T4_EUlifE_EEvlNS_15PhiloxCudaStateESH_SI_,comdat
.Lfunc_end34:
	.size	_ZN2at6native12_GLOBAL__N_143distribution_elementwise_grid_stride_kernelIfLi4EZNS0_9templates4cuda21uniform_and_transformIN3c108BFloat16EfPNS_17CUDAGeneratorImplEZZZNS4_16geometric_kernelIS9_EEvRNS_18TensorIteratorBaseEdT_ENKUlvE_clEvENKUlvE7_clEvEUlfE_EEvSC_T1_T2_EUlP25hiprandStatePhilox4_32_10E0_ZNS1_27distribution_nullary_kernelIS7_f15HIP_vector_typeIfLj4EES9_SL_SG_EEvSC_SI_RKT3_T4_EUlifE_EEvlNS_15PhiloxCudaStateESH_SI_, .Lfunc_end34-_ZN2at6native12_GLOBAL__N_143distribution_elementwise_grid_stride_kernelIfLi4EZNS0_9templates4cuda21uniform_and_transformIN3c108BFloat16EfPNS_17CUDAGeneratorImplEZZZNS4_16geometric_kernelIS9_EEvRNS_18TensorIteratorBaseEdT_ENKUlvE_clEvENKUlvE7_clEvEUlfE_EEvSC_T1_T2_EUlP25hiprandStatePhilox4_32_10E0_ZNS1_27distribution_nullary_kernelIS7_f15HIP_vector_typeIfLj4EES9_SL_SG_EEvSC_SI_RKT3_T4_EUlifE_EEvlNS_15PhiloxCudaStateESH_SI_
                                        ; -- End function
	.section	.AMDGPU.csdata,"",@progbits
; Kernel info:
; codeLenInByte = 3736
; NumSgprs: 31
; NumVgprs: 52
; NumAgprs: 0
; TotalNumVgprs: 52
; ScratchSize: 0
; MemoryBound: 0
; FloatMode: 240
; IeeeMode: 1
; LDSByteSize: 0 bytes/workgroup (compile time only)
; SGPRBlocks: 3
; VGPRBlocks: 6
; NumSGPRsForWavesPerEU: 31
; NumVGPRsForWavesPerEU: 52
; AccumOffset: 52
; Occupancy: 8
; WaveLimiterHint : 0
; COMPUTE_PGM_RSRC2:SCRATCH_EN: 0
; COMPUTE_PGM_RSRC2:USER_SGPR: 6
; COMPUTE_PGM_RSRC2:TRAP_HANDLER: 0
; COMPUTE_PGM_RSRC2:TGID_X_EN: 1
; COMPUTE_PGM_RSRC2:TGID_Y_EN: 0
; COMPUTE_PGM_RSRC2:TGID_Z_EN: 0
; COMPUTE_PGM_RSRC2:TIDIG_COMP_CNT: 0
; COMPUTE_PGM_RSRC3_GFX90A:ACCUM_OFFSET: 12
; COMPUTE_PGM_RSRC3_GFX90A:TG_SPLIT: 0
	.section	.text._ZN2at6native12_GLOBAL__N_143distribution_elementwise_grid_stride_kernelIfLi4EZNS0_9templates4cuda21uniform_and_transformIN3c108BFloat16EfPNS_17CUDAGeneratorImplEZZZNS4_16geometric_kernelIS9_EEvRNS_18TensorIteratorBaseEdT_ENKUlvE_clEvENKUlvE7_clEvEUlfE_EEvSC_T1_T2_EUlP25hiprandStatePhilox4_32_10E0_ZNS1_27distribution_nullary_kernelIS7_f15HIP_vector_typeIfLj4EES9_SL_SG_EEvSC_SI_RKT3_T4_EUlifE0_EEvlNS_15PhiloxCudaStateESH_SI_,"axG",@progbits,_ZN2at6native12_GLOBAL__N_143distribution_elementwise_grid_stride_kernelIfLi4EZNS0_9templates4cuda21uniform_and_transformIN3c108BFloat16EfPNS_17CUDAGeneratorImplEZZZNS4_16geometric_kernelIS9_EEvRNS_18TensorIteratorBaseEdT_ENKUlvE_clEvENKUlvE7_clEvEUlfE_EEvSC_T1_T2_EUlP25hiprandStatePhilox4_32_10E0_ZNS1_27distribution_nullary_kernelIS7_f15HIP_vector_typeIfLj4EES9_SL_SG_EEvSC_SI_RKT3_T4_EUlifE0_EEvlNS_15PhiloxCudaStateESH_SI_,comdat
	.globl	_ZN2at6native12_GLOBAL__N_143distribution_elementwise_grid_stride_kernelIfLi4EZNS0_9templates4cuda21uniform_and_transformIN3c108BFloat16EfPNS_17CUDAGeneratorImplEZZZNS4_16geometric_kernelIS9_EEvRNS_18TensorIteratorBaseEdT_ENKUlvE_clEvENKUlvE7_clEvEUlfE_EEvSC_T1_T2_EUlP25hiprandStatePhilox4_32_10E0_ZNS1_27distribution_nullary_kernelIS7_f15HIP_vector_typeIfLj4EES9_SL_SG_EEvSC_SI_RKT3_T4_EUlifE0_EEvlNS_15PhiloxCudaStateESH_SI_ ; -- Begin function _ZN2at6native12_GLOBAL__N_143distribution_elementwise_grid_stride_kernelIfLi4EZNS0_9templates4cuda21uniform_and_transformIN3c108BFloat16EfPNS_17CUDAGeneratorImplEZZZNS4_16geometric_kernelIS9_EEvRNS_18TensorIteratorBaseEdT_ENKUlvE_clEvENKUlvE7_clEvEUlfE_EEvSC_T1_T2_EUlP25hiprandStatePhilox4_32_10E0_ZNS1_27distribution_nullary_kernelIS7_f15HIP_vector_typeIfLj4EES9_SL_SG_EEvSC_SI_RKT3_T4_EUlifE0_EEvlNS_15PhiloxCudaStateESH_SI_
	.p2align	8
	.type	_ZN2at6native12_GLOBAL__N_143distribution_elementwise_grid_stride_kernelIfLi4EZNS0_9templates4cuda21uniform_and_transformIN3c108BFloat16EfPNS_17CUDAGeneratorImplEZZZNS4_16geometric_kernelIS9_EEvRNS_18TensorIteratorBaseEdT_ENKUlvE_clEvENKUlvE7_clEvEUlfE_EEvSC_T1_T2_EUlP25hiprandStatePhilox4_32_10E0_ZNS1_27distribution_nullary_kernelIS7_f15HIP_vector_typeIfLj4EES9_SL_SG_EEvSC_SI_RKT3_T4_EUlifE0_EEvlNS_15PhiloxCudaStateESH_SI_,@function
_ZN2at6native12_GLOBAL__N_143distribution_elementwise_grid_stride_kernelIfLi4EZNS0_9templates4cuda21uniform_and_transformIN3c108BFloat16EfPNS_17CUDAGeneratorImplEZZZNS4_16geometric_kernelIS9_EEvRNS_18TensorIteratorBaseEdT_ENKUlvE_clEvENKUlvE7_clEvEUlfE_EEvSC_T1_T2_EUlP25hiprandStatePhilox4_32_10E0_ZNS1_27distribution_nullary_kernelIS7_f15HIP_vector_typeIfLj4EES9_SL_SG_EEvSC_SI_RKT3_T4_EUlifE0_EEvlNS_15PhiloxCudaStateESH_SI_: ; @_ZN2at6native12_GLOBAL__N_143distribution_elementwise_grid_stride_kernelIfLi4EZNS0_9templates4cuda21uniform_and_transformIN3c108BFloat16EfPNS_17CUDAGeneratorImplEZZZNS4_16geometric_kernelIS9_EEvRNS_18TensorIteratorBaseEdT_ENKUlvE_clEvENKUlvE7_clEvEUlfE_EEvSC_T1_T2_EUlP25hiprandStatePhilox4_32_10E0_ZNS1_27distribution_nullary_kernelIS7_f15HIP_vector_typeIfLj4EES9_SL_SG_EEvSC_SI_RKT3_T4_EUlifE0_EEvlNS_15PhiloxCudaStateESH_SI_
; %bb.0:
	s_load_dword s2, s[4:5], 0x20
	s_load_dwordx2 s[0:1], s[4:5], 0x10
	s_load_dwordx4 s[24:27], s[4:5], 0x0
	s_waitcnt lgkmcnt(0)
	s_bitcmp0_b32 s2, 0
	s_mov_b32 s2, 0
	v_pk_mov_b32 v[2:3], s[0:1], s[0:1] op_sel:[0,1]
	v_pk_mov_b32 v[12:13], s[26:27], s[26:27] op_sel:[0,1]
	s_cbranch_scc1 .LBB35_2
; %bb.1:
	v_pk_mov_b32 v[2:3], s[0:1], s[0:1] op_sel:[0,1]
	flat_load_dwordx2 v[2:3], v[2:3]
	v_pk_mov_b32 v[4:5], s[26:27], s[26:27] op_sel:[0,1]
	flat_load_dwordx2 v[12:13], v[4:5]
	s_load_dwordx2 s[0:1], s[4:5], 0x18
	s_waitcnt lgkmcnt(0)
	v_mov_b32_e32 v1, s1
	s_waitcnt vmcnt(0)
	v_add_co_u32_e32 v2, vcc, s0, v2
	v_addc_co_u32_e32 v3, vcc, v3, v1, vcc
.LBB35_2:
	s_load_dword s0, s[4:5], 0x154
	s_load_dword s7, s[4:5], 0x148
	s_waitcnt lgkmcnt(0)
	s_and_b32 s8, s0, 0xffff
	s_add_u32 s9, s24, -1
	s_mul_i32 s33, s7, s8
	s_addc_u32 s3, s25, -1
	s_lshl_b32 s58, s33, 2
	s_cmp_lg_u64 s[2:3], 0
	s_mov_b64 s[0:1], -1
	s_cbranch_scc0 .LBB35_83
; %bb.3:
	v_cvt_f32_u32_e32 v1, s58
	v_cvt_f32_ubyte0_e32 v4, 0
	s_sub_u32 s2, 0, s58
	s_subb_u32 s10, 0, 0
	v_madmk_f32 v1, v4, 0x4f800000, v1
	v_rcp_f32_e32 v1, v1
	v_mul_f32_e32 v1, 0x5f7ffffc, v1
	v_mul_f32_e32 v4, 0x2f800000, v1
	v_trunc_f32_e32 v4, v4
	v_madmk_f32 v1, v4, 0xcf800000, v1
	v_cvt_u32_f32_e32 v4, v4
	v_cvt_u32_f32_e32 v1, v1
	v_readfirstlane_b32 s11, v4
	v_readfirstlane_b32 s12, v1
	s_mul_i32 s13, s2, s11
	s_mul_hi_u32 s15, s2, s12
	s_mul_i32 s14, s10, s12
	s_add_i32 s13, s15, s13
	s_add_i32 s13, s13, s14
	s_mul_i32 s16, s2, s12
	s_mul_hi_u32 s14, s12, s13
	s_mul_i32 s15, s12, s13
	s_mul_hi_u32 s12, s12, s16
	s_add_u32 s12, s12, s15
	s_addc_u32 s14, 0, s14
	s_mul_hi_u32 s17, s11, s16
	s_mul_i32 s16, s11, s16
	s_add_u32 s12, s12, s16
	s_mul_hi_u32 s15, s11, s13
	s_addc_u32 s12, s14, s17
	s_addc_u32 s14, s15, 0
	s_mul_i32 s13, s11, s13
	s_add_u32 s12, s12, s13
	s_addc_u32 s13, 0, s14
	v_add_co_u32_e32 v1, vcc, s12, v1
	s_cmp_lg_u64 vcc, 0
	s_addc_u32 s11, s11, s13
	v_readfirstlane_b32 s13, v1
	s_mul_i32 s12, s2, s11
	s_mul_hi_u32 s14, s2, s13
	s_add_i32 s12, s14, s12
	s_mul_i32 s10, s10, s13
	s_add_i32 s12, s12, s10
	s_mul_i32 s2, s2, s13
	s_mul_hi_u32 s14, s11, s2
	s_mul_i32 s15, s11, s2
	s_mul_i32 s17, s13, s12
	s_mul_hi_u32 s2, s13, s2
	s_mul_hi_u32 s16, s13, s12
	s_add_u32 s2, s2, s17
	s_addc_u32 s13, 0, s16
	s_add_u32 s2, s2, s15
	s_mul_hi_u32 s10, s11, s12
	s_addc_u32 s2, s13, s14
	s_addc_u32 s10, s10, 0
	s_mul_i32 s12, s11, s12
	s_add_u32 s2, s2, s12
	s_addc_u32 s10, 0, s10
	v_add_co_u32_e32 v1, vcc, s2, v1
	s_cmp_lg_u64 vcc, 0
	s_addc_u32 s12, s11, s10
	s_ashr_i32 s10, s3, 31
	s_add_u32 s2, s9, s10
	s_mov_b32 s11, s10
	s_addc_u32 s3, s3, s10
	s_xor_b64 s[2:3], s[2:3], s[10:11]
	v_readfirstlane_b32 s15, v1
	s_mul_i32 s14, s2, s12
	s_mul_hi_u32 s16, s2, s15
	s_mul_hi_u32 s13, s2, s12
	s_add_u32 s14, s16, s14
	s_addc_u32 s13, 0, s13
	s_mul_hi_u32 s17, s3, s15
	s_mul_i32 s15, s3, s15
	s_add_u32 s14, s14, s15
	s_mul_hi_u32 s16, s3, s12
	s_addc_u32 s13, s13, s17
	s_addc_u32 s14, s16, 0
	s_mul_i32 s12, s3, s12
	s_add_u32 s12, s13, s12
	s_addc_u32 s13, 0, s14
	s_add_u32 s14, s12, 1
	s_addc_u32 s15, s13, 0
	s_add_u32 s16, s12, 2
	s_mul_i32 s18, s58, s13
	s_mul_hi_u32 s19, s58, s12
	s_addc_u32 s17, s13, 0
	s_add_i32 s19, s19, s18
	s_mul_i32 s18, s58, s12
	v_mov_b32_e32 v1, s18
	v_sub_co_u32_e32 v1, vcc, s2, v1
	s_cmp_lg_u64 vcc, 0
	s_subb_u32 s2, s3, s19
	v_subrev_co_u32_e32 v4, vcc, s58, v1
	s_cmp_lg_u64 vcc, 0
	s_subb_u32 s3, s2, 0
	v_readfirstlane_b32 s18, v4
	s_cmp_ge_u32 s18, s58
	s_cselect_b32 s18, -1, 0
	s_cmp_eq_u32 s3, 0
	s_cselect_b32 s3, s18, -1
	s_cmp_lg_u32 s3, 0
	s_cselect_b32 s3, s17, s15
	v_readfirstlane_b32 s15, v1
	s_cselect_b32 s14, s16, s14
	s_cmp_ge_u32 s15, s58
	s_cselect_b32 s15, -1, 0
	s_cmp_eq_u32 s2, 0
	s_cselect_b32 s2, s15, -1
	s_cmp_lg_u32 s2, 0
	s_cselect_b32 s3, s3, s13
	s_cselect_b32 s2, s14, s12
	s_xor_b64 s[2:3], s[2:3], s[10:11]
	s_sub_u32 s2, s2, s10
	s_subb_u32 s3, s3, s10
	s_cbranch_execnz .LBB35_5
.LBB35_4:
	v_cvt_f32_u32_e32 v1, s58
	s_sub_i32 s0, 0, s58
	s_mov_b32 s3, 0
	v_rcp_iflag_f32_e32 v1, v1
	v_mul_f32_e32 v1, 0x4f7ffffe, v1
	v_cvt_u32_f32_e32 v1, v1
	v_readfirstlane_b32 s1, v1
	s_mul_i32 s0, s0, s1
	s_mul_hi_u32 s0, s1, s0
	s_add_i32 s1, s1, s0
	s_mul_hi_u32 s0, s9, s1
	s_mul_i32 s2, s0, s58
	s_sub_i32 s2, s9, s2
	s_add_i32 s1, s0, 1
	s_sub_i32 s9, s2, s58
	s_cmp_ge_u32 s2, s58
	s_cselect_b32 s0, s1, s0
	s_cselect_b32 s2, s9, s2
	s_add_i32 s1, s0, 1
	s_cmp_ge_u32 s2, s58
	s_cselect_b32 s2, s1, s0
.LBB35_5:
	v_mov_b32_e32 v1, 0
	v_mov_b32_e32 v4, s6
	v_mad_u64_u32 v[14:15], s[0:1], s8, v4, v[0:1]
	s_add_u32 s0, s2, 1
	s_addc_u32 s1, s3, 0
	s_mul_hi_u32 s2, s7, s8
	s_mul_i32 s1, s33, s1
	s_mul_hi_u32 s3, s33, s0
	s_add_i32 s1, s3, s1
	s_mul_i32 s2, s2, s0
	s_add_i32 s1, s1, s2
	s_mul_i32 s0, s33, s0
	s_lshl_b64 s[26:27], s[0:1], 2
	v_cmp_gt_i64_e32 vcc, s[26:27], v[14:15]
	s_and_saveexec_b64 s[0:1], vcc
	s_cbranch_execz .LBB35_82
; %bb.6:
	s_mov_b32 s0, 0x5384540f
	v_mov_b32_e32 v0, v13
	v_add_co_u32_e32 v22, vcc, s0, v12
	s_mov_b32 s0, 0x646e171e
	v_add_co_u32_e32 v23, vcc, s0, v0
	s_mov_b32 s0, 0x1715609d
	;; [unrolled: 2-line block ×6, first 2 shown]
	v_alignbit_b32 v29, v3, v2, 2
	s_mov_b32 s60, 0xd2511f53
	v_add_co_u32_e32 v28, vcc, s0, v12
	v_mad_u64_u32 v[4:5], s[0:1], v29, s60, 0
	v_xor_b32_e32 v1, v5, v13
	v_xor_b32_e32 v1, v1, v15
	s_mov_b32 s61, 0xcd9e8d57
	v_mad_u64_u32 v[6:7], s[0:1], v1, s61, 0
	v_xor_b32_e32 v1, v28, v7
	v_mad_u64_u32 v[8:9], s[0:1], v14, s61, 0
	v_and_b32_e32 v18, 3, v2
	v_xor_b32_e32 v1, v1, v8
	v_xor_b32_e32 v2, v12, v9
	v_lshrrev_b32_e32 v30, 2, v3
	v_mad_u64_u32 v[10:11], s[0:1], v1, s60, 0
	v_xor_b32_e32 v2, v2, v30
	v_xor_b32_e32 v1, v27, v11
	v_mad_u64_u32 v[2:3], s[0:1], v2, s60, 0
	v_xor_b32_e32 v1, v1, v2
	v_mad_u64_u32 v[8:9], s[0:1], v1, s61, 0
	s_mov_b32 s0, 0xbb67ae85
	v_add_co_u32_e32 v31, vcc, s0, v0
	v_xor_b32_e32 v2, v31, v3
	v_xor_b32_e32 v2, v2, v4
	v_xor_b32_e32 v1, v26, v9
	v_mad_u64_u32 v[2:3], s[0:1], v2, s61, 0
	v_xor_b32_e32 v1, v1, v2
	v_mad_u64_u32 v[4:5], s[0:1], v1, s60, 0
	s_mov_b32 s0, 0x3c6ef372
	v_add_co_u32_e32 v32, vcc, s0, v12
	v_xor_b32_e32 v2, v32, v3
	;; [unrolled: 8-line block ×6, first 2 shown]
	v_add_co_u32_e32 v21, vcc, 0xdb3d7428, v0
	v_xor_b32_e32 v2, v2, v6
	v_xor_b32_e32 v1, v21, v5
	v_mad_u64_u32 v[2:3], s[0:1], v2, s60, 0
	v_xor_b32_e32 v1, v1, v2
	v_mad_u64_u32 v[6:7], s[0:1], v1, s61, 0
	s_mov_b32 s0, 0x1fd5c5a3
	v_add_co_u32_e32 v37, vcc, s0, v0
	v_xor_b32_e32 v0, v37, v3
	v_xor_b32_e32 v0, v0, v10
	v_mad_u64_u32 v[0:1], s[0:1], v0, s61, 0
	s_mov_b32 s0, 0xf1bbcdc8
	v_add_co_u32_e32 v38, vcc, s0, v12
	s_load_dwordx2 s[46:47], s[4:5], 0xf4
	s_load_dwordx4 s[28:31], s[4:5], 0x138
	v_xor_b32_e32 v1, v38, v1
	v_xor_b32_e32 v1, v1, v8
	v_mad_u64_u32 v[8:9], s[0:1], v1, s60, 0
	v_add_u32_e32 v20, 0x96a522ad, v13
	v_xor_b32_e32 v1, v9, v4
	v_xor_b32_e32 v2, v20, v1
	v_mov_b32_e32 v1, v6
	s_waitcnt lgkmcnt(0)
	v_cvt_f32_f64_e32 v6, s[30:31]
	v_xor_b32_e32 v0, v7, v0
	v_sub_f32_e32 v7, 1.0, v6
	v_add_f32_e32 v4, -1.0, v7
	v_sub_f32_e32 v5, v4, v7
	v_add_f32_e32 v5, 1.0, v5
	v_sub_f32_e64 v4, -v6, v4
	v_mov_b32_e32 v3, v8
	v_add_f32_e32 v8, v4, v5
	v_frexp_mant_f32_e32 v9, v7
	s_mov_b32 s0, 0x3f2aaaab
	v_cvt_f64_f32_e32 v[4:5], v7
	v_frexp_exp_i32_f64_e32 v4, v[4:5]
	v_cmp_gt_f32_e32 vcc, s0, v9
	v_subbrev_co_u32_e32 v4, vcc, 0, v4, vcc
	v_sub_u32_e32 v5, 0, v4
	v_ldexp_f32 v7, v7, v5
	v_ldexp_f32 v5, v8, v5
	v_add_f32_e32 v8, -1.0, v7
	v_add_f32_e32 v11, 1.0, v7
	v_add_f32_e32 v9, 1.0, v8
	v_add_f32_e32 v16, -1.0, v11
	v_sub_f32_e32 v9, v7, v9
	v_sub_f32_e32 v7, v7, v16
	v_add_f32_e32 v9, v5, v9
	v_add_f32_e32 v5, v5, v7
	;; [unrolled: 1-line block ×3, first 2 shown]
	v_rcp_f32_e32 v16, v7
	v_add_f32_e32 v10, v8, v9
	v_sub_f32_e32 v8, v10, v8
	v_sub_f32_e32 v8, v9, v8
	;; [unrolled: 1-line block ×4, first 2 shown]
	v_mul_f32_e32 v9, v10, v16
	v_mul_f32_e32 v11, v7, v9
	v_fma_f32 v17, v9, v7, -v11
	v_fmac_f32_e32 v17, v9, v5
	v_add_f32_e32 v39, v11, v17
	v_sub_f32_e32 v40, v10, v39
	v_sub_f32_e32 v10, v10, v40
	;; [unrolled: 1-line block ×4, first 2 shown]
	v_add_f32_e32 v8, v8, v10
	v_sub_f32_e32 v10, v11, v17
	v_add_f32_e32 v8, v10, v8
	v_add_f32_e32 v10, v40, v8
	v_mul_f32_e32 v11, v16, v10
	v_mul_f32_e32 v17, v7, v11
	v_fma_f32 v7, v11, v7, -v17
	v_fmac_f32_e32 v7, v11, v5
	v_sub_f32_e32 v5, v40, v10
	v_add_f32_e32 v5, v8, v5
	v_add_f32_e32 v8, v17, v7
	v_sub_f32_e32 v39, v10, v8
	v_sub_f32_e32 v10, v10, v39
	;; [unrolled: 1-line block ×4, first 2 shown]
	v_add_f32_e32 v5, v5, v8
	v_sub_f32_e32 v7, v17, v7
	v_add_f32_e32 v5, v7, v5
	v_add_f32_e32 v7, v9, v11
	;; [unrolled: 1-line block ×3, first 2 shown]
	v_sub_f32_e32 v8, v7, v9
	v_mul_f32_e32 v5, v16, v5
	v_sub_f32_e32 v8, v11, v8
	v_add_f32_e32 v5, v8, v5
	v_cvt_f32_i32_e32 v4, v4
	v_add_f32_e32 v8, v7, v5
	v_mul_f32_e32 v9, v8, v8
	v_mov_b32_e32 v10, 0x3ecc95a3
	v_fmac_f32_e32 v10, 0x3e9b6dac, v9
	v_mov_b32_e32 v11, 0x3f2aaada
	v_fmac_f32_e32 v11, v9, v10
	s_mov_b32 s0, 0x3f317218
	v_mul_f32_e32 v10, 0x3f317218, v4
	v_fma_f32 v16, v4, s0, -v10
	v_fmac_f32_e32 v16, 0xb102e308, v4
	v_sub_f32_e32 v4, v8, v7
	v_sub_f32_e32 v4, v5, v4
	v_add_f32_e32 v5, v10, v16
	v_sub_f32_e32 v7, v5, v10
	v_ldexp_f32 v10, v8, 1
	v_mul_f32_e32 v8, v8, v9
	v_mul_f32_e32 v8, v8, v11
	v_add_f32_e32 v9, v10, v8
	v_sub_f32_e32 v10, v9, v10
	v_ldexp_f32 v4, v4, 1
	v_sub_f32_e32 v8, v8, v10
	v_add_f32_e32 v4, v4, v8
	v_add_f32_e32 v8, v9, v4
	v_sub_f32_e32 v9, v8, v9
	s_load_dwordx8 s[8:15], s[4:5], 0x30
	v_sub_f32_e32 v4, v4, v9
	v_add_f32_e32 v9, v5, v8
	v_sub_f32_e32 v10, v9, v5
	v_sub_f32_e32 v11, v9, v10
	;; [unrolled: 1-line block ×5, first 2 shown]
	s_add_u32 s34, s4, 48
	v_add_f32_e32 v5, v8, v5
	v_add_f32_e32 v8, v7, v4
	s_addc_u32 s35, s5, 0
	s_waitcnt lgkmcnt(0)
	s_add_i32 s2, s8, -1
	v_sub_f32_e32 v10, v8, v7
	s_cmp_gt_u32 s2, 1
	v_sub_f32_e32 v11, v8, v10
	s_cselect_b64 s[40:41], -1, 0
	s_cmp_lg_u32 s8, 0
	v_sub_f32_e32 v7, v7, v11
	v_sub_f32_e32 v4, v4, v10
	v_add_f32_e32 v5, v8, v5
	s_cselect_b64 s[42:43], -1, 0
	s_add_u32 s44, s4, 0xf4
	v_add_f32_e32 v4, v4, v7
	v_add_f32_e32 v7, v9, v5
	s_addc_u32 s45, s5, 0
	s_min_u32 s3, s2, 15
	v_sub_f32_e32 v8, v7, v9
	s_cmp_gt_u32 s8, 1
	v_sub_f32_e32 v5, v5, v8
	s_cselect_b64 s[48:49], -1, 0
	v_add_f32_e32 v4, v4, v5
	s_mov_b32 s0, 0xff800000
	s_add_i32 s3, s3, 1
	s_mov_b32 s8, s13
	v_add_f32_e32 v4, v7, v4
	v_cmp_eq_f32_e32 vcc, s0, v6
	s_lshl_b32 s13, s33, 1
	s_and_b32 s64, s3, 3
	v_cndmask_b32_e64 v4, v4, -v6, vcc
	v_mov_b32_e32 v5, 0x7fc00000
	v_cmp_nlt_f32_e32 vcc, 1.0, v6
	s_cmp_lg_u32 s2, 2
	v_cndmask_b32_e32 v4, v5, v4, vcc
	v_mov_b32_e32 v5, 0xff800000
	v_cmp_neq_f32_e32 vcc, 1.0, v6
	s_mov_b32 s0, 0x33800000
	s_cselect_b64 s[30:31], -1, 0
	s_and_b32 s65, s3, 28
	s_mov_b32 s59, 0
	v_add_u32_e32 v19, 0x8ff34781, v12
	v_cndmask_b32_e32 v4, v5, v4, vcc
	v_cmp_lt_f32_e64 s[0:1], |v6|, s0
	s_cmp_lg_u32 s64, 0
	v_xor_b32_e32 v0, v19, v0
	v_cndmask_b32_e64 v39, v4, -v6, s[0:1]
	s_mov_b32 s15, s59
	s_mul_i32 s62, s33, 3
	s_mov_b32 s63, s59
	s_mov_b64 s[50:51], 0
	s_cselect_b64 s[52:53], -1, 0
	s_mov_b32 s66, 0x800000
	s_mov_b32 s67, 0x3f317217
	s_mov_b32 s68, 0x7f800000
	s_movk_i32 s69, 0x7fff
	v_mov_b32_e32 v40, 0x4f800000
	v_mov_b32_e32 v41, 0x41b17218
	;; [unrolled: 1-line block ×5, first 2 shown]
	s_branch .LBB35_9
.LBB35_7:                               ;   in Loop: Header=BB35_9 Depth=1
	v_cvt_f32_u32_e32 v1, v3
	v_mov_b32_e32 v2, 0x2f800000
	v_fmac_f32_e32 v2, 0x2f800000, v1
	v_cmp_gt_f32_e32 vcc, s66, v2
	v_cndmask_b32_e32 v1, 1.0, v40, vcc
	v_mul_f32_e32 v1, v2, v1
	v_log_f32_e32 v1, v1
	v_cndmask_b32_e32 v2, 0, v41, vcc
	v_mul_f32_e32 v3, 0x3f317217, v1
	v_fma_f32 v7, v1, s67, -v3
	v_fmac_f32_e32 v7, 0x3377d1cf, v1
	v_add_f32_e32 v3, v3, v7
	v_cmp_lt_f32_e64 vcc, |v1|, s68
	v_cndmask_b32_e32 v1, v1, v3, vcc
	v_sub_f32_e32 v1, v1, v2
	v_div_scale_f32 v2, s[0:1], v39, v39, v1
	v_rcp_f32_e32 v3, v2
	v_div_scale_f32 v7, vcc, v1, v39, v1
	v_fma_f32 v8, -v2, v3, 1.0
	v_fmac_f32_e32 v3, v8, v3
	v_mul_f32_e32 v8, v7, v3
	v_fma_f32 v9, -v2, v8, v7
	v_fmac_f32_e32 v8, v9, v3
	v_fma_f32 v2, -v2, v8, v7
	v_div_fmas_f32 v2, v2, v3, v8
	v_div_fixup_f32 v1, v2, v39, v1
	v_ceil_f32_e32 v1, v1
	v_bfe_u32 v2, v1, 16, 1
	v_add3_u32 v2, v1, v2, s69
	v_lshrrev_b32_e32 v2, 16, v2
	v_cmp_o_f32_e32 vcc, v1, v1
	v_cndmask_b32_e32 v1, v42, v2, vcc
	global_store_short v0, v1, s[28:29]
.LBB35_8:                               ;   in Loop: Header=BB35_9 Depth=1
	s_or_b64 exec, exec, s[36:37]
	v_add_co_u32_e32 v14, vcc, s58, v14
	v_addc_co_u32_e32 v15, vcc, 0, v15, vcc
	v_mov_b32_e32 v7, v16
	v_cmp_le_i64_e32 vcc, s[26:27], v[14:15]
	v_pk_mov_b32 v[0:1], v[4:5], v[4:5] op_sel:[0,1]
	s_or_b64 s[50:51], vcc, s[50:51]
	v_pk_mov_b32 v[2:3], v[6:7], v[6:7] op_sel:[0,1]
	s_barrier
	s_andn2_b64 exec, exec, s[50:51]
	s_cbranch_execz .LBB35_82
.LBB35_9:                               ; =>This Loop Header: Depth=1
                                        ;     Child Loop BB35_24 Depth 2
                                        ;     Child Loop BB35_30 Depth 2
	;; [unrolled: 1-line block ×8, first 2 shown]
	v_add_co_u32_e32 v29, vcc, 1, v29
	v_cndmask_b32_e64 v4, 0, 1, vcc
	v_addc_co_u32_e32 v30, vcc, 0, v30, vcc
	v_cmp_eq_u32_e32 vcc, 0, v30
	v_cndmask_b32_e32 v4, 0, v4, vcc
	v_add_u32_e32 v43, v4, v43
	v_cmp_eq_u32_e32 vcc, 0, v43
	v_cndmask_b32_e32 v4, 0, v4, vcc
	v_add_u32_e32 v44, v4, v44
	v_mad_u64_u32 v[4:5], s[0:1], v29, s60, 0
	v_mad_u64_u32 v[6:7], s[0:1], v43, s61, 0
	v_xor_b32_e32 v5, v5, v13
	v_xor_b32_e32 v7, v7, v12
	v_xor_b32_e32 v5, v44, v5
	v_xor_b32_e32 v7, v30, v7
	v_mad_u64_u32 v[10:11], s[0:1], v5, s61, 0
	v_mad_u64_u32 v[8:9], s[0:1], v7, s60, 0
	v_xor_b32_e32 v5, v28, v11
	v_xor_b32_e32 v5, v5, v6
	v_xor_b32_e32 v6, v31, v9
	v_xor_b32_e32 v6, v6, v4
	;; [unrolled: 6-line block ×10, first 2 shown]
	v_mov_b32_e32 v5, v10
	v_mov_b32_e32 v6, v11
	v_cmp_lt_i32_e32 vcc, 1, v18
	s_and_saveexec_b64 s[0:1], vcc
	s_xor_b64 s[0:1], exec, s[0:1]
	s_cbranch_execz .LBB35_15
; %bb.10:                               ;   in Loop: Header=BB35_9 Depth=1
	v_cmp_lt_i32_e32 vcc, 2, v18
	s_and_saveexec_b64 s[2:3], vcc
	s_xor_b64 s[2:3], exec, s[2:3]
; %bb.11:                               ;   in Loop: Header=BB35_9 Depth=1
	v_mov_b32_e32 v8, v3
	v_mov_b32_e32 v9, v4
	v_pk_mov_b32 v[0:1], v[8:9], v[8:9] op_sel:[0,1]
	v_pk_mov_b32 v[2:3], v[10:11], v[10:11] op_sel:[0,1]
                                        ; implicit-def: $vgpr10_vgpr11
; %bb.12:                               ;   in Loop: Header=BB35_9 Depth=1
	s_andn2_saveexec_b64 s[2:3], s[2:3]
; %bb.13:                               ;   in Loop: Header=BB35_9 Depth=1
	v_mov_b32_e32 v0, v2
	v_mov_b32_e32 v1, v3
	;; [unrolled: 1-line block ×4, first 2 shown]
; %bb.14:                               ;   in Loop: Header=BB35_9 Depth=1
	s_or_b64 exec, exec, s[2:3]
.LBB35_15:                              ;   in Loop: Header=BB35_9 Depth=1
	s_andn2_saveexec_b64 s[0:1], s[0:1]
	s_cbranch_execz .LBB35_19
; %bb.16:                               ;   in Loop: Header=BB35_9 Depth=1
	v_cmp_eq_u32_e32 vcc, 1, v18
	s_and_saveexec_b64 s[2:3], vcc
; %bb.17:                               ;   in Loop: Header=BB35_9 Depth=1
	v_mov_b32_e32 v0, v1
	v_mov_b32_e32 v1, v2
	;; [unrolled: 1-line block ×4, first 2 shown]
; %bb.18:                               ;   in Loop: Header=BB35_9 Depth=1
	s_or_b64 exec, exec, s[2:3]
.LBB35_19:                              ;   in Loop: Header=BB35_9 Depth=1
	s_or_b64 exec, exec, s[0:1]
	v_cndmask_b32_e64 v7, 0, 1, s[40:41]
	v_cmp_gt_i64_e32 vcc, s[24:25], v[14:15]
	v_cmp_ne_u32_e64 s[0:1], 1, v7
	s_and_saveexec_b64 s[2:3], vcc
	s_cbranch_execz .LBB35_35
; %bb.20:                               ;   in Loop: Header=BB35_9 Depth=1
	s_and_b64 vcc, exec, s[0:1]
	s_cbranch_vccnz .LBB35_26
; %bb.21:                               ;   in Loop: Header=BB35_9 Depth=1
	s_andn2_b64 vcc, exec, s[42:43]
	s_cbranch_vccnz .LBB35_27
; %bb.22:                               ;   in Loop: Header=BB35_9 Depth=1
	s_mov_b32 s6, 0
	s_andn2_b64 vcc, exec, s[30:31]
	v_mov_b32_e32 v8, 0
	s_cbranch_vccnz .LBB35_28
; %bb.23:                               ;   in Loop: Header=BB35_9 Depth=1
	s_mov_b32 s70, 0
	v_mov_b32_e32 v8, 0
	s_mov_b64 s[54:55], s[34:35]
	s_mov_b64 s[56:57], s[44:45]
	v_mov_b32_e32 v7, v14
.LBB35_24:                              ;   Parent Loop BB35_9 Depth=1
                                        ; =>  This Inner Loop Header: Depth=2
	s_load_dwordx8 s[16:23], s[54:55], 0x4
	s_load_dwordx4 s[4:7], s[54:55], 0x24
	s_load_dwordx4 s[36:39], s[56:57], 0x0
	s_add_u32 s54, s54, 48
	s_addc_u32 s55, s55, 0
	s_waitcnt lgkmcnt(0)
	v_mul_hi_u32 v9, s17, v7
	v_add_u32_e32 v9, v7, v9
	v_lshrrev_b32_e32 v9, s18, v9
	v_mul_lo_u32 v10, v9, s16
	v_mul_hi_u32 v11, s20, v9
	v_sub_u32_e32 v7, v7, v10
	v_add_u32_e32 v10, v9, v11
	v_lshrrev_b32_e32 v10, s21, v10
	v_mul_lo_u32 v11, v10, s19
	v_mul_hi_u32 v17, s23, v10
	v_sub_u32_e32 v9, v9, v11
	v_add_u32_e32 v11, v10, v17
	v_mul_lo_u32 v7, v7, s36
	v_mul_lo_u32 v9, v9, s37
	v_lshrrev_b32_e32 v11, s4, v11
	v_add3_u32 v8, v7, v8, v9
	v_mul_lo_u32 v7, v11, s22
	v_mul_hi_u32 v9, s6, v11
	v_sub_u32_e32 v7, v10, v7
	v_add_u32_e32 v9, v11, v9
	v_mul_lo_u32 v10, v7, s38
	v_lshrrev_b32_e32 v7, s7, v9
	s_add_i32 s70, s70, 4
	v_mul_lo_u32 v9, v7, s5
	s_add_u32 s56, s56, 16
	v_sub_u32_e32 v9, v11, v9
	s_addc_u32 s57, s57, 0
	v_mul_lo_u32 v9, v9, s39
	s_cmp_lg_u32 s65, s70
	v_add3_u32 v8, v10, v8, v9
	s_cbranch_scc1 .LBB35_24
; %bb.25:                               ;   in Loop: Header=BB35_9 Depth=1
	s_mov_b32 s6, s65
	s_andn2_b64 vcc, exec, s[52:53]
	s_cbranch_vccz .LBB35_29
	s_branch .LBB35_31
.LBB35_26:                              ;   in Loop: Header=BB35_9 Depth=1
                                        ; implicit-def: $vgpr8
	s_branch .LBB35_32
.LBB35_27:                              ;   in Loop: Header=BB35_9 Depth=1
	v_mov_b32_e32 v8, 0
	s_branch .LBB35_31
.LBB35_28:                              ;   in Loop: Header=BB35_9 Depth=1
	v_mov_b32_e32 v7, v14
	s_andn2_b64 vcc, exec, s[52:53]
	s_cbranch_vccnz .LBB35_31
.LBB35_29:                              ;   in Loop: Header=BB35_9 Depth=1
	s_lshl_b32 s4, s6, 2
	s_add_u32 s4, s44, s4
	s_addc_u32 s5, s45, 0
	s_mul_i32 s6, s6, 12
	s_add_u32 s6, s34, s6
	s_addc_u32 s7, s35, 0
	s_mov_b32 s16, s64
.LBB35_30:                              ;   Parent Loop BB35_9 Depth=1
                                        ; =>  This Inner Loop Header: Depth=2
	s_load_dwordx2 s[18:19], s[6:7], 0x4
	s_load_dword s17, s[6:7], 0xc
	s_load_dword s20, s[4:5], 0x0
	s_add_u32 s6, s6, 12
	s_addc_u32 s7, s7, 0
	s_waitcnt lgkmcnt(0)
	v_mul_hi_u32 v9, s19, v7
	v_add_u32_e32 v9, v7, v9
	v_lshrrev_b32_e32 v9, s17, v9
	s_add_u32 s4, s4, 4
	v_mul_lo_u32 v10, v9, s18
	s_addc_u32 s5, s5, 0
	s_add_i32 s16, s16, -1
	v_sub_u32_e32 v10, v7, v10
	s_cmp_lg_u32 s16, 0
	v_mov_b32_e32 v7, v9
	v_mad_u64_u32 v[8:9], s[18:19], v10, s20, v[8:9]
	s_cbranch_scc1 .LBB35_30
.LBB35_31:                              ;   in Loop: Header=BB35_9 Depth=1
	s_cbranch_execnz .LBB35_34
.LBB35_32:                              ;   in Loop: Header=BB35_9 Depth=1
	v_mul_hi_u32 v7, v14, s10
	v_add_u32_e32 v7, v7, v14
	v_lshrrev_b32_e32 v7, s11, v7
	v_mul_lo_u32 v8, v7, s9
	v_sub_u32_e32 v8, v14, v8
	s_andn2_b64 vcc, exec, s[48:49]
	v_mul_lo_u32 v8, v8, s46
	s_cbranch_vccnz .LBB35_34
; %bb.33:                               ;   in Loop: Header=BB35_9 Depth=1
	v_mul_hi_u32 v9, s8, v7
	v_add_u32_e32 v9, v7, v9
	v_lshrrev_b32_e32 v9, s14, v9
	v_mul_lo_u32 v9, v9, s12
	v_sub_u32_e32 v7, v7, v9
	v_mad_u64_u32 v[8:9], s[4:5], v7, s47, v[8:9]
.LBB35_34:                              ;   in Loop: Header=BB35_9 Depth=1
	v_cvt_f32_u32_e32 v0, v0
	v_mov_b32_e32 v7, 0x2f800000
	v_fmac_f32_e32 v7, 0x2f800000, v0
	v_cmp_gt_f32_e32 vcc, s66, v7
	v_cndmask_b32_e32 v0, 1.0, v40, vcc
	v_mul_f32_e32 v0, v7, v0
	v_log_f32_e32 v0, v0
	v_cndmask_b32_e32 v7, 0, v41, vcc
	v_mul_f32_e32 v9, 0x3f317217, v0
	v_fma_f32 v10, v0, s67, -v9
	v_fmac_f32_e32 v10, 0x3377d1cf, v0
	v_add_f32_e32 v9, v9, v10
	v_cmp_lt_f32_e64 vcc, |v0|, s68
	v_cndmask_b32_e32 v0, v0, v9, vcc
	v_sub_f32_e32 v0, v0, v7
	v_div_scale_f32 v7, s[4:5], v39, v39, v0
	v_rcp_f32_e32 v9, v7
	v_div_scale_f32 v10, vcc, v0, v39, v0
	v_fma_f32 v11, -v7, v9, 1.0
	v_fmac_f32_e32 v9, v11, v9
	v_mul_f32_e32 v11, v10, v9
	v_fma_f32 v17, -v7, v11, v10
	v_fmac_f32_e32 v11, v17, v9
	v_fma_f32 v7, -v7, v11, v10
	v_div_fmas_f32 v7, v7, v9, v11
	v_div_fixup_f32 v0, v7, v39, v0
	v_ceil_f32_e32 v0, v0
	v_bfe_u32 v7, v0, 16, 1
	v_add3_u32 v7, v0, v7, s69
	v_lshrrev_b32_e32 v7, 16, v7
	v_cmp_o_f32_e32 vcc, v0, v0
	v_cndmask_b32_e32 v0, v42, v7, vcc
	global_store_short v8, v0, s[28:29]
.LBB35_35:                              ;   in Loop: Header=BB35_9 Depth=1
	s_or_b64 exec, exec, s[2:3]
	v_mov_b32_e32 v0, s59
	v_add_co_u32_e32 v10, vcc, s33, v14
	v_addc_co_u32_e32 v11, vcc, v15, v0, vcc
	v_cmp_gt_i64_e32 vcc, s[24:25], v[10:11]
	s_and_saveexec_b64 s[2:3], vcc
	s_cbranch_execz .LBB35_51
; %bb.36:                               ;   in Loop: Header=BB35_9 Depth=1
	s_and_b64 vcc, exec, s[0:1]
	s_cbranch_vccnz .LBB35_42
; %bb.37:                               ;   in Loop: Header=BB35_9 Depth=1
	s_andn2_b64 vcc, exec, s[42:43]
	s_cbranch_vccnz .LBB35_43
; %bb.38:                               ;   in Loop: Header=BB35_9 Depth=1
	s_mov_b32 s6, 0
	s_andn2_b64 vcc, exec, s[30:31]
	v_mov_b32_e32 v8, 0
	s_cbranch_vccnz .LBB35_44
; %bb.39:                               ;   in Loop: Header=BB35_9 Depth=1
	s_mov_b32 s70, 0
	v_mov_b32_e32 v8, 0
	s_mov_b64 s[54:55], s[34:35]
	s_mov_b64 s[56:57], s[44:45]
	v_mov_b32_e32 v0, v10
.LBB35_40:                              ;   Parent Loop BB35_9 Depth=1
                                        ; =>  This Inner Loop Header: Depth=2
	s_load_dwordx8 s[16:23], s[54:55], 0x4
	s_load_dwordx4 s[4:7], s[54:55], 0x24
	s_load_dwordx4 s[36:39], s[56:57], 0x0
	s_add_u32 s54, s54, 48
	s_addc_u32 s55, s55, 0
	s_waitcnt lgkmcnt(0)
	v_mul_hi_u32 v7, s17, v0
	v_add_u32_e32 v7, v0, v7
	v_lshrrev_b32_e32 v7, s18, v7
	v_mul_lo_u32 v9, v7, s16
	v_mul_hi_u32 v11, s20, v7
	v_sub_u32_e32 v0, v0, v9
	v_add_u32_e32 v9, v7, v11
	v_lshrrev_b32_e32 v9, s21, v9
	v_mul_lo_u32 v11, v9, s19
	v_mul_hi_u32 v17, s23, v9
	v_sub_u32_e32 v7, v7, v11
	v_add_u32_e32 v11, v9, v17
	v_mul_lo_u32 v0, v0, s36
	v_mul_lo_u32 v7, v7, s37
	v_lshrrev_b32_e32 v11, s4, v11
	v_add3_u32 v7, v0, v8, v7
	v_mul_lo_u32 v0, v11, s22
	v_mul_hi_u32 v8, s6, v11
	v_sub_u32_e32 v0, v9, v0
	v_add_u32_e32 v8, v11, v8
	v_mul_lo_u32 v9, v0, s38
	v_lshrrev_b32_e32 v0, s7, v8
	s_add_i32 s70, s70, 4
	v_mul_lo_u32 v8, v0, s5
	s_add_u32 s56, s56, 16
	v_sub_u32_e32 v8, v11, v8
	s_addc_u32 s57, s57, 0
	v_mul_lo_u32 v8, v8, s39
	s_cmp_eq_u32 s65, s70
	v_add3_u32 v8, v9, v7, v8
	s_cbranch_scc0 .LBB35_40
; %bb.41:                               ;   in Loop: Header=BB35_9 Depth=1
	s_mov_b32 s6, s65
	s_andn2_b64 vcc, exec, s[52:53]
	s_cbranch_vccz .LBB35_45
	s_branch .LBB35_47
.LBB35_42:                              ;   in Loop: Header=BB35_9 Depth=1
                                        ; implicit-def: $vgpr8
	s_branch .LBB35_48
.LBB35_43:                              ;   in Loop: Header=BB35_9 Depth=1
	v_mov_b32_e32 v8, 0
	s_branch .LBB35_47
.LBB35_44:                              ;   in Loop: Header=BB35_9 Depth=1
	v_mov_b32_e32 v0, v10
	s_andn2_b64 vcc, exec, s[52:53]
	s_cbranch_vccnz .LBB35_47
.LBB35_45:                              ;   in Loop: Header=BB35_9 Depth=1
	s_lshl_b32 s4, s6, 2
	s_add_u32 s4, s44, s4
	s_addc_u32 s5, s45, 0
	s_mul_i32 s6, s6, 12
	s_add_u32 s6, s34, s6
	s_addc_u32 s7, s35, 0
	s_mov_b32 s16, s64
.LBB35_46:                              ;   Parent Loop BB35_9 Depth=1
                                        ; =>  This Inner Loop Header: Depth=2
	s_load_dwordx2 s[18:19], s[6:7], 0x4
	s_load_dword s17, s[6:7], 0xc
	s_load_dword s20, s[4:5], 0x0
	s_add_u32 s6, s6, 12
	s_addc_u32 s7, s7, 0
	s_waitcnt lgkmcnt(0)
	v_mul_hi_u32 v7, s19, v0
	v_add_u32_e32 v7, v0, v7
	v_lshrrev_b32_e32 v7, s17, v7
	s_add_u32 s4, s4, 4
	v_mul_lo_u32 v9, v7, s18
	s_addc_u32 s5, s5, 0
	s_add_i32 s16, s16, -1
	v_sub_u32_e32 v9, v0, v9
	s_cmp_lg_u32 s16, 0
	v_mov_b32_e32 v0, v7
	v_mad_u64_u32 v[8:9], s[18:19], v9, s20, v[8:9]
	s_cbranch_scc1 .LBB35_46
.LBB35_47:                              ;   in Loop: Header=BB35_9 Depth=1
	s_cbranch_execnz .LBB35_50
.LBB35_48:                              ;   in Loop: Header=BB35_9 Depth=1
	v_mul_hi_u32 v0, v10, s10
	v_add_u32_e32 v0, v0, v10
	v_lshrrev_b32_e32 v0, s11, v0
	v_mul_lo_u32 v7, v0, s9
	v_sub_u32_e32 v7, v10, v7
	s_andn2_b64 vcc, exec, s[48:49]
	v_mul_lo_u32 v8, v7, s46
	s_cbranch_vccnz .LBB35_50
; %bb.49:                               ;   in Loop: Header=BB35_9 Depth=1
	v_mul_hi_u32 v7, s8, v0
	v_add_u32_e32 v7, v0, v7
	v_lshrrev_b32_e32 v7, s14, v7
	v_mul_lo_u32 v7, v7, s12
	v_sub_u32_e32 v0, v0, v7
	v_mad_u64_u32 v[8:9], s[4:5], v0, s47, v[8:9]
.LBB35_50:                              ;   in Loop: Header=BB35_9 Depth=1
	v_cvt_f32_u32_e32 v0, v1
	v_mov_b32_e32 v1, 0x2f800000
	v_fmac_f32_e32 v1, 0x2f800000, v0
	v_cmp_gt_f32_e32 vcc, s66, v1
	v_cndmask_b32_e32 v0, 1.0, v40, vcc
	v_mul_f32_e32 v0, v1, v0
	v_log_f32_e32 v0, v0
	v_cndmask_b32_e32 v1, 0, v41, vcc
	v_mul_f32_e32 v7, 0x3f317217, v0
	v_fma_f32 v9, v0, s67, -v7
	v_fmac_f32_e32 v9, 0x3377d1cf, v0
	v_add_f32_e32 v7, v7, v9
	v_cmp_lt_f32_e64 vcc, |v0|, s68
	v_cndmask_b32_e32 v0, v0, v7, vcc
	v_sub_f32_e32 v0, v0, v1
	v_div_scale_f32 v1, s[4:5], v39, v39, v0
	v_rcp_f32_e32 v7, v1
	v_div_scale_f32 v9, vcc, v0, v39, v0
	v_fma_f32 v10, -v1, v7, 1.0
	v_fmac_f32_e32 v7, v10, v7
	v_mul_f32_e32 v10, v9, v7
	v_fma_f32 v11, -v1, v10, v9
	v_fmac_f32_e32 v10, v11, v7
	v_fma_f32 v1, -v1, v10, v9
	v_div_fmas_f32 v1, v1, v7, v10
	v_div_fixup_f32 v0, v1, v39, v0
	v_ceil_f32_e32 v0, v0
	v_bfe_u32 v1, v0, 16, 1
	v_add3_u32 v1, v0, v1, s69
	v_lshrrev_b32_e32 v1, 16, v1
	v_cmp_o_f32_e32 vcc, v0, v0
	v_cndmask_b32_e32 v0, v42, v1, vcc
	global_store_short v8, v0, s[28:29]
.LBB35_51:                              ;   in Loop: Header=BB35_9 Depth=1
	s_or_b64 exec, exec, s[2:3]
	v_mov_b32_e32 v0, s15
	v_add_co_u32_e32 v8, vcc, s13, v14
	v_addc_co_u32_e32 v9, vcc, v15, v0, vcc
	v_cmp_gt_i64_e32 vcc, s[24:25], v[8:9]
	s_and_saveexec_b64 s[2:3], vcc
	s_cbranch_execz .LBB35_67
; %bb.52:                               ;   in Loop: Header=BB35_9 Depth=1
	s_and_b64 vcc, exec, s[0:1]
	s_cbranch_vccnz .LBB35_58
; %bb.53:                               ;   in Loop: Header=BB35_9 Depth=1
	s_andn2_b64 vcc, exec, s[42:43]
	s_cbranch_vccnz .LBB35_59
; %bb.54:                               ;   in Loop: Header=BB35_9 Depth=1
	s_mov_b32 s6, 0
	s_andn2_b64 vcc, exec, s[30:31]
	v_mov_b32_e32 v0, 0
	s_cbranch_vccnz .LBB35_60
; %bb.55:                               ;   in Loop: Header=BB35_9 Depth=1
	s_mov_b32 s70, 0
	v_mov_b32_e32 v0, 0
	s_mov_b64 s[54:55], s[34:35]
	s_mov_b64 s[56:57], s[44:45]
	v_mov_b32_e32 v7, v8
.LBB35_56:                              ;   Parent Loop BB35_9 Depth=1
                                        ; =>  This Inner Loop Header: Depth=2
	s_load_dwordx8 s[16:23], s[54:55], 0x4
	s_load_dwordx4 s[4:7], s[54:55], 0x24
	s_load_dwordx4 s[36:39], s[56:57], 0x0
	s_add_u32 s54, s54, 48
	s_addc_u32 s55, s55, 0
	s_waitcnt lgkmcnt(0)
	v_mul_hi_u32 v1, s17, v7
	v_add_u32_e32 v1, v7, v1
	v_lshrrev_b32_e32 v1, s18, v1
	v_mul_lo_u32 v9, v1, s16
	v_mul_hi_u32 v10, s20, v1
	v_sub_u32_e32 v7, v7, v9
	v_add_u32_e32 v9, v1, v10
	v_lshrrev_b32_e32 v9, s21, v9
	v_mul_lo_u32 v10, v9, s19
	v_mul_hi_u32 v11, s23, v9
	v_sub_u32_e32 v1, v1, v10
	v_add_u32_e32 v10, v9, v11
	v_mul_lo_u32 v7, v7, s36
	v_mul_lo_u32 v1, v1, s37
	v_lshrrev_b32_e32 v10, s4, v10
	v_add3_u32 v0, v7, v0, v1
	v_mul_hi_u32 v7, s6, v10
	v_add_u32_e32 v7, v10, v7
	v_mul_lo_u32 v1, v10, s22
	v_lshrrev_b32_e32 v7, s7, v7
	s_add_i32 s70, s70, 4
	v_sub_u32_e32 v1, v9, v1
	v_mul_lo_u32 v9, v7, s5
	s_add_u32 s56, s56, 16
	v_sub_u32_e32 v9, v10, v9
	s_addc_u32 s57, s57, 0
	v_mul_lo_u32 v1, v1, s38
	v_mul_lo_u32 v9, v9, s39
	s_cmp_eq_u32 s65, s70
	v_add3_u32 v0, v1, v0, v9
	s_cbranch_scc0 .LBB35_56
; %bb.57:                               ;   in Loop: Header=BB35_9 Depth=1
	s_mov_b32 s6, s65
	s_andn2_b64 vcc, exec, s[52:53]
	s_cbranch_vccz .LBB35_61
	s_branch .LBB35_63
.LBB35_58:                              ;   in Loop: Header=BB35_9 Depth=1
                                        ; implicit-def: $vgpr0
	s_branch .LBB35_64
.LBB35_59:                              ;   in Loop: Header=BB35_9 Depth=1
	v_mov_b32_e32 v0, 0
	s_branch .LBB35_63
.LBB35_60:                              ;   in Loop: Header=BB35_9 Depth=1
	v_mov_b32_e32 v7, v8
	s_andn2_b64 vcc, exec, s[52:53]
	s_cbranch_vccnz .LBB35_63
.LBB35_61:                              ;   in Loop: Header=BB35_9 Depth=1
	s_lshl_b32 s4, s6, 2
	s_add_u32 s4, s44, s4
	s_addc_u32 s5, s45, 0
	s_mul_i32 s6, s6, 12
	s_add_u32 s6, s34, s6
	s_addc_u32 s7, s35, 0
	s_mov_b32 s16, s64
.LBB35_62:                              ;   Parent Loop BB35_9 Depth=1
                                        ; =>  This Inner Loop Header: Depth=2
	s_load_dwordx2 s[18:19], s[6:7], 0x4
	s_load_dword s17, s[6:7], 0xc
	s_load_dword s20, s[4:5], 0x0
	s_add_u32 s6, s6, 12
	s_addc_u32 s7, s7, 0
	s_waitcnt lgkmcnt(0)
	v_mul_hi_u32 v1, s19, v7
	v_add_u32_e32 v1, v7, v1
	v_lshrrev_b32_e32 v1, s17, v1
	s_add_u32 s4, s4, 4
	v_mul_lo_u32 v9, v1, s18
	s_addc_u32 s5, s5, 0
	s_add_i32 s16, s16, -1
	v_sub_u32_e32 v9, v7, v9
	s_cmp_lg_u32 s16, 0
	v_mov_b32_e32 v7, v1
	v_mad_u64_u32 v[0:1], s[18:19], v9, s20, v[0:1]
	s_cbranch_scc1 .LBB35_62
.LBB35_63:                              ;   in Loop: Header=BB35_9 Depth=1
	s_cbranch_execnz .LBB35_66
.LBB35_64:                              ;   in Loop: Header=BB35_9 Depth=1
	v_mul_hi_u32 v0, v8, s10
	v_add_u32_e32 v0, v0, v8
	v_lshrrev_b32_e32 v1, s11, v0
	v_mul_lo_u32 v0, v1, s9
	v_sub_u32_e32 v0, v8, v0
	s_andn2_b64 vcc, exec, s[48:49]
	v_mul_lo_u32 v0, v0, s46
	s_cbranch_vccnz .LBB35_66
; %bb.65:                               ;   in Loop: Header=BB35_9 Depth=1
	v_mul_hi_u32 v7, s8, v1
	v_add_u32_e32 v7, v1, v7
	v_lshrrev_b32_e32 v7, s14, v7
	v_mul_lo_u32 v7, v7, s12
	v_sub_u32_e32 v1, v1, v7
	v_mad_u64_u32 v[0:1], s[4:5], v1, s47, v[0:1]
.LBB35_66:                              ;   in Loop: Header=BB35_9 Depth=1
	v_cvt_f32_u32_e32 v1, v2
	v_mov_b32_e32 v2, 0x2f800000
	v_fmac_f32_e32 v2, 0x2f800000, v1
	v_cmp_gt_f32_e32 vcc, s66, v2
	v_cndmask_b32_e32 v1, 1.0, v40, vcc
	v_mul_f32_e32 v1, v2, v1
	v_log_f32_e32 v1, v1
	v_cndmask_b32_e32 v2, 0, v41, vcc
	v_mul_f32_e32 v7, 0x3f317217, v1
	v_fma_f32 v8, v1, s67, -v7
	v_fmac_f32_e32 v8, 0x3377d1cf, v1
	v_add_f32_e32 v7, v7, v8
	v_cmp_lt_f32_e64 vcc, |v1|, s68
	v_cndmask_b32_e32 v1, v1, v7, vcc
	v_sub_f32_e32 v1, v1, v2
	v_div_scale_f32 v2, s[4:5], v39, v39, v1
	v_rcp_f32_e32 v7, v2
	v_div_scale_f32 v8, vcc, v1, v39, v1
	v_fma_f32 v9, -v2, v7, 1.0
	v_fmac_f32_e32 v7, v9, v7
	v_mul_f32_e32 v9, v8, v7
	v_fma_f32 v10, -v2, v9, v8
	v_fmac_f32_e32 v9, v10, v7
	v_fma_f32 v2, -v2, v9, v8
	v_div_fmas_f32 v2, v2, v7, v9
	v_div_fixup_f32 v1, v2, v39, v1
	v_ceil_f32_e32 v1, v1
	v_bfe_u32 v2, v1, 16, 1
	v_add3_u32 v2, v1, v2, s69
	v_lshrrev_b32_e32 v2, 16, v2
	v_cmp_o_f32_e32 vcc, v1, v1
	v_cndmask_b32_e32 v1, v42, v2, vcc
	global_store_short v0, v1, s[28:29]
.LBB35_67:                              ;   in Loop: Header=BB35_9 Depth=1
	s_or_b64 exec, exec, s[2:3]
	v_mov_b32_e32 v0, s63
	v_add_co_u32_e32 v8, vcc, s62, v14
	v_addc_co_u32_e32 v9, vcc, v15, v0, vcc
	v_cmp_gt_i64_e32 vcc, s[24:25], v[8:9]
	s_and_saveexec_b64 s[36:37], vcc
	s_cbranch_execz .LBB35_8
; %bb.68:                               ;   in Loop: Header=BB35_9 Depth=1
	s_and_b64 vcc, exec, s[0:1]
	s_cbranch_vccnz .LBB35_74
; %bb.69:                               ;   in Loop: Header=BB35_9 Depth=1
	s_andn2_b64 vcc, exec, s[42:43]
	s_cbranch_vccnz .LBB35_75
; %bb.70:                               ;   in Loop: Header=BB35_9 Depth=1
	s_mov_b32 s2, 0
	s_andn2_b64 vcc, exec, s[30:31]
	v_mov_b32_e32 v0, 0
	s_cbranch_vccnz .LBB35_76
; %bb.71:                               ;   in Loop: Header=BB35_9 Depth=1
	s_mov_b32 s56, 0
	v_mov_b32_e32 v0, 0
	s_mov_b64 s[38:39], s[34:35]
	s_mov_b64 s[54:55], s[44:45]
	v_mov_b32_e32 v2, v8
.LBB35_72:                              ;   Parent Loop BB35_9 Depth=1
                                        ; =>  This Inner Loop Header: Depth=2
	s_load_dwordx8 s[0:7], s[38:39], 0x4
	s_load_dwordx4 s[16:19], s[38:39], 0x24
	s_load_dwordx4 s[20:23], s[54:55], 0x0
	s_add_u32 s38, s38, 48
	s_addc_u32 s39, s39, 0
	s_waitcnt lgkmcnt(0)
	v_mul_hi_u32 v1, s1, v2
	v_add_u32_e32 v1, v2, v1
	v_lshrrev_b32_e32 v1, s2, v1
	v_mul_lo_u32 v7, v1, s0
	v_mul_hi_u32 v9, s4, v1
	v_sub_u32_e32 v2, v2, v7
	v_add_u32_e32 v7, v1, v9
	v_lshrrev_b32_e32 v7, s5, v7
	v_mul_lo_u32 v9, v7, s3
	v_mul_hi_u32 v10, s7, v7
	v_sub_u32_e32 v1, v1, v9
	v_add_u32_e32 v9, v7, v10
	v_mul_lo_u32 v2, v2, s20
	v_mul_lo_u32 v1, v1, s21
	v_lshrrev_b32_e32 v9, s16, v9
	v_add3_u32 v0, v2, v0, v1
	v_mul_hi_u32 v2, s18, v9
	v_add_u32_e32 v2, v9, v2
	v_mul_lo_u32 v1, v9, s6
	v_lshrrev_b32_e32 v2, s19, v2
	s_add_i32 s56, s56, 4
	v_sub_u32_e32 v1, v7, v1
	v_mul_lo_u32 v7, v2, s17
	s_add_u32 s54, s54, 16
	v_sub_u32_e32 v7, v9, v7
	s_addc_u32 s55, s55, 0
	v_mul_lo_u32 v1, v1, s22
	v_mul_lo_u32 v7, v7, s23
	s_cmp_eq_u32 s65, s56
	v_add3_u32 v0, v1, v0, v7
	s_cbranch_scc0 .LBB35_72
; %bb.73:                               ;   in Loop: Header=BB35_9 Depth=1
	s_mov_b32 s2, s65
	s_andn2_b64 vcc, exec, s[52:53]
	s_cbranch_vccz .LBB35_77
	s_branch .LBB35_79
.LBB35_74:                              ;   in Loop: Header=BB35_9 Depth=1
                                        ; implicit-def: $vgpr0
	s_branch .LBB35_80
.LBB35_75:                              ;   in Loop: Header=BB35_9 Depth=1
	v_mov_b32_e32 v0, 0
	s_branch .LBB35_79
.LBB35_76:                              ;   in Loop: Header=BB35_9 Depth=1
	v_mov_b32_e32 v2, v8
	s_andn2_b64 vcc, exec, s[52:53]
	s_cbranch_vccnz .LBB35_79
.LBB35_77:                              ;   in Loop: Header=BB35_9 Depth=1
	s_lshl_b32 s0, s2, 2
	s_add_u32 s0, s44, s0
	s_addc_u32 s1, s45, 0
	s_mul_i32 s2, s2, 12
	s_add_u32 s2, s34, s2
	s_addc_u32 s3, s35, 0
	s_mov_b32 s4, s64
.LBB35_78:                              ;   Parent Loop BB35_9 Depth=1
                                        ; =>  This Inner Loop Header: Depth=2
	s_load_dwordx2 s[6:7], s[2:3], 0x4
	s_load_dword s5, s[2:3], 0xc
	s_load_dword s16, s[0:1], 0x0
	s_add_u32 s2, s2, 12
	s_addc_u32 s3, s3, 0
	s_waitcnt lgkmcnt(0)
	v_mul_hi_u32 v1, s7, v2
	v_add_u32_e32 v1, v2, v1
	v_lshrrev_b32_e32 v1, s5, v1
	s_add_u32 s0, s0, 4
	v_mul_lo_u32 v7, v1, s6
	s_addc_u32 s1, s1, 0
	s_add_i32 s4, s4, -1
	v_sub_u32_e32 v7, v2, v7
	s_cmp_lg_u32 s4, 0
	v_mov_b32_e32 v2, v1
	v_mad_u64_u32 v[0:1], s[6:7], v7, s16, v[0:1]
	s_cbranch_scc1 .LBB35_78
.LBB35_79:                              ;   in Loop: Header=BB35_9 Depth=1
	s_cbranch_execnz .LBB35_7
.LBB35_80:                              ;   in Loop: Header=BB35_9 Depth=1
	v_mul_hi_u32 v0, v8, s10
	v_add_u32_e32 v0, v0, v8
	v_lshrrev_b32_e32 v1, s11, v0
	v_mul_lo_u32 v0, v1, s9
	v_sub_u32_e32 v0, v8, v0
	s_andn2_b64 vcc, exec, s[48:49]
	v_mul_lo_u32 v0, v0, s46
	s_cbranch_vccnz .LBB35_7
; %bb.81:                               ;   in Loop: Header=BB35_9 Depth=1
	v_mul_hi_u32 v2, s8, v1
	v_add_u32_e32 v2, v1, v2
	v_lshrrev_b32_e32 v2, s14, v2
	v_mul_lo_u32 v2, v2, s12
	v_sub_u32_e32 v1, v1, v2
	v_mad_u64_u32 v[0:1], s[0:1], v1, s47, v[0:1]
	s_branch .LBB35_7
.LBB35_82:
	s_endpgm
.LBB35_83:
                                        ; implicit-def: $sgpr2_sgpr3
	s_andn2_b64 vcc, exec, s[0:1]
	s_cbranch_vccz .LBB35_4
	s_branch .LBB35_5
	.section	.rodata,"a",@progbits
	.p2align	6, 0x0
	.amdhsa_kernel _ZN2at6native12_GLOBAL__N_143distribution_elementwise_grid_stride_kernelIfLi4EZNS0_9templates4cuda21uniform_and_transformIN3c108BFloat16EfPNS_17CUDAGeneratorImplEZZZNS4_16geometric_kernelIS9_EEvRNS_18TensorIteratorBaseEdT_ENKUlvE_clEvENKUlvE7_clEvEUlfE_EEvSC_T1_T2_EUlP25hiprandStatePhilox4_32_10E0_ZNS1_27distribution_nullary_kernelIS7_f15HIP_vector_typeIfLj4EES9_SL_SG_EEvSC_SI_RKT3_T4_EUlifE0_EEvlNS_15PhiloxCudaStateESH_SI_
		.amdhsa_group_segment_fixed_size 0
		.amdhsa_private_segment_fixed_size 0
		.amdhsa_kernarg_size 584
		.amdhsa_user_sgpr_count 6
		.amdhsa_user_sgpr_private_segment_buffer 1
		.amdhsa_user_sgpr_dispatch_ptr 0
		.amdhsa_user_sgpr_queue_ptr 0
		.amdhsa_user_sgpr_kernarg_segment_ptr 1
		.amdhsa_user_sgpr_dispatch_id 0
		.amdhsa_user_sgpr_flat_scratch_init 0
		.amdhsa_user_sgpr_kernarg_preload_length 0
		.amdhsa_user_sgpr_kernarg_preload_offset 0
		.amdhsa_user_sgpr_private_segment_size 0
		.amdhsa_uses_dynamic_stack 0
		.amdhsa_system_sgpr_private_segment_wavefront_offset 0
		.amdhsa_system_sgpr_workgroup_id_x 1
		.amdhsa_system_sgpr_workgroup_id_y 0
		.amdhsa_system_sgpr_workgroup_id_z 0
		.amdhsa_system_sgpr_workgroup_info 0
		.amdhsa_system_vgpr_workitem_id 0
		.amdhsa_next_free_vgpr 45
		.amdhsa_next_free_sgpr 71
		.amdhsa_accum_offset 48
		.amdhsa_reserve_vcc 1
		.amdhsa_reserve_flat_scratch 0
		.amdhsa_float_round_mode_32 0
		.amdhsa_float_round_mode_16_64 0
		.amdhsa_float_denorm_mode_32 3
		.amdhsa_float_denorm_mode_16_64 3
		.amdhsa_dx10_clamp 1
		.amdhsa_ieee_mode 1
		.amdhsa_fp16_overflow 0
		.amdhsa_tg_split 0
		.amdhsa_exception_fp_ieee_invalid_op 0
		.amdhsa_exception_fp_denorm_src 0
		.amdhsa_exception_fp_ieee_div_zero 0
		.amdhsa_exception_fp_ieee_overflow 0
		.amdhsa_exception_fp_ieee_underflow 0
		.amdhsa_exception_fp_ieee_inexact 0
		.amdhsa_exception_int_div_zero 0
	.end_amdhsa_kernel
	.section	.text._ZN2at6native12_GLOBAL__N_143distribution_elementwise_grid_stride_kernelIfLi4EZNS0_9templates4cuda21uniform_and_transformIN3c108BFloat16EfPNS_17CUDAGeneratorImplEZZZNS4_16geometric_kernelIS9_EEvRNS_18TensorIteratorBaseEdT_ENKUlvE_clEvENKUlvE7_clEvEUlfE_EEvSC_T1_T2_EUlP25hiprandStatePhilox4_32_10E0_ZNS1_27distribution_nullary_kernelIS7_f15HIP_vector_typeIfLj4EES9_SL_SG_EEvSC_SI_RKT3_T4_EUlifE0_EEvlNS_15PhiloxCudaStateESH_SI_,"axG",@progbits,_ZN2at6native12_GLOBAL__N_143distribution_elementwise_grid_stride_kernelIfLi4EZNS0_9templates4cuda21uniform_and_transformIN3c108BFloat16EfPNS_17CUDAGeneratorImplEZZZNS4_16geometric_kernelIS9_EEvRNS_18TensorIteratorBaseEdT_ENKUlvE_clEvENKUlvE7_clEvEUlfE_EEvSC_T1_T2_EUlP25hiprandStatePhilox4_32_10E0_ZNS1_27distribution_nullary_kernelIS7_f15HIP_vector_typeIfLj4EES9_SL_SG_EEvSC_SI_RKT3_T4_EUlifE0_EEvlNS_15PhiloxCudaStateESH_SI_,comdat
.Lfunc_end35:
	.size	_ZN2at6native12_GLOBAL__N_143distribution_elementwise_grid_stride_kernelIfLi4EZNS0_9templates4cuda21uniform_and_transformIN3c108BFloat16EfPNS_17CUDAGeneratorImplEZZZNS4_16geometric_kernelIS9_EEvRNS_18TensorIteratorBaseEdT_ENKUlvE_clEvENKUlvE7_clEvEUlfE_EEvSC_T1_T2_EUlP25hiprandStatePhilox4_32_10E0_ZNS1_27distribution_nullary_kernelIS7_f15HIP_vector_typeIfLj4EES9_SL_SG_EEvSC_SI_RKT3_T4_EUlifE0_EEvlNS_15PhiloxCudaStateESH_SI_, .Lfunc_end35-_ZN2at6native12_GLOBAL__N_143distribution_elementwise_grid_stride_kernelIfLi4EZNS0_9templates4cuda21uniform_and_transformIN3c108BFloat16EfPNS_17CUDAGeneratorImplEZZZNS4_16geometric_kernelIS9_EEvRNS_18TensorIteratorBaseEdT_ENKUlvE_clEvENKUlvE7_clEvEUlfE_EEvSC_T1_T2_EUlP25hiprandStatePhilox4_32_10E0_ZNS1_27distribution_nullary_kernelIS7_f15HIP_vector_typeIfLj4EES9_SL_SG_EEvSC_SI_RKT3_T4_EUlifE0_EEvlNS_15PhiloxCudaStateESH_SI_
                                        ; -- End function
	.section	.AMDGPU.csdata,"",@progbits
; Kernel info:
; codeLenInByte = 5676
; NumSgprs: 75
; NumVgprs: 45
; NumAgprs: 0
; TotalNumVgprs: 45
; ScratchSize: 0
; MemoryBound: 0
; FloatMode: 240
; IeeeMode: 1
; LDSByteSize: 0 bytes/workgroup (compile time only)
; SGPRBlocks: 9
; VGPRBlocks: 5
; NumSGPRsForWavesPerEU: 75
; NumVGPRsForWavesPerEU: 45
; AccumOffset: 48
; Occupancy: 8
; WaveLimiterHint : 1
; COMPUTE_PGM_RSRC2:SCRATCH_EN: 0
; COMPUTE_PGM_RSRC2:USER_SGPR: 6
; COMPUTE_PGM_RSRC2:TRAP_HANDLER: 0
; COMPUTE_PGM_RSRC2:TGID_X_EN: 1
; COMPUTE_PGM_RSRC2:TGID_Y_EN: 0
; COMPUTE_PGM_RSRC2:TGID_Z_EN: 0
; COMPUTE_PGM_RSRC2:TIDIG_COMP_CNT: 0
; COMPUTE_PGM_RSRC3_GFX90A:ACCUM_OFFSET: 11
; COMPUTE_PGM_RSRC3_GFX90A:TG_SPLIT: 0
	.text
	.p2alignl 6, 3212836864
	.fill 256, 4, 3212836864
	.type	__hip_cuid_612cffc53c11b561,@object ; @__hip_cuid_612cffc53c11b561
	.section	.bss,"aw",@nobits
	.globl	__hip_cuid_612cffc53c11b561
__hip_cuid_612cffc53c11b561:
	.byte	0                               ; 0x0
	.size	__hip_cuid_612cffc53c11b561, 1

	.ident	"AMD clang version 19.0.0git (https://github.com/RadeonOpenCompute/llvm-project roc-6.4.0 25133 c7fe45cf4b819c5991fe208aaa96edf142730f1d)"
	.section	".note.GNU-stack","",@progbits
	.addrsig
	.addrsig_sym __hip_cuid_612cffc53c11b561
	.amdgpu_metadata
---
amdhsa.kernels:
  - .agpr_count:     0
    .args:
      - .offset:         0
        .size:           8
        .value_kind:     by_value
      - .offset:         8
        .size:           32
        .value_kind:     by_value
      - .offset:         40
        .size:           1
        .value_kind:     by_value
      - .offset:         48
        .size:           24
        .value_kind:     by_value
      - .offset:         72
        .size:           4
        .value_kind:     hidden_block_count_x
      - .offset:         76
        .size:           4
        .value_kind:     hidden_block_count_y
      - .offset:         80
        .size:           4
        .value_kind:     hidden_block_count_z
      - .offset:         84
        .size:           2
        .value_kind:     hidden_group_size_x
      - .offset:         86
        .size:           2
        .value_kind:     hidden_group_size_y
      - .offset:         88
        .size:           2
        .value_kind:     hidden_group_size_z
      - .offset:         90
        .size:           2
        .value_kind:     hidden_remainder_x
      - .offset:         92
        .size:           2
        .value_kind:     hidden_remainder_y
      - .offset:         94
        .size:           2
        .value_kind:     hidden_remainder_z
      - .offset:         112
        .size:           8
        .value_kind:     hidden_global_offset_x
      - .offset:         120
        .size:           8
        .value_kind:     hidden_global_offset_y
      - .offset:         128
        .size:           8
        .value_kind:     hidden_global_offset_z
      - .offset:         136
        .size:           2
        .value_kind:     hidden_grid_dims
    .group_segment_fixed_size: 0
    .kernarg_segment_align: 8
    .kernarg_segment_size: 328
    .language:       OpenCL C
    .language_version:
      - 2
      - 0
    .max_flat_workgroup_size: 256
    .name:           _ZN2at6native12_GLOBAL__N_143distribution_elementwise_grid_stride_kernelIfLi4EZNS0_9templates4cuda21uniform_and_transformIhfPNS_17CUDAGeneratorImplEZZZNS4_16geometric_kernelIS7_EEvRNS_18TensorIteratorBaseEdT_ENKUlvE_clEvENKUlvE_clEvEUlfE_EEvSA_T1_T2_EUlP25hiprandStatePhilox4_32_10E_ZNS1_27distribution_nullary_kernelIhf15HIP_vector_typeIdLj2EES7_SJ_SE_EEvSA_SG_RKT3_T4_EUlifE_EEvlNS_15PhiloxCudaStateESF_SG_
    .private_segment_fixed_size: 0
    .sgpr_count:     30
    .sgpr_spill_count: 0
    .symbol:         _ZN2at6native12_GLOBAL__N_143distribution_elementwise_grid_stride_kernelIfLi4EZNS0_9templates4cuda21uniform_and_transformIhfPNS_17CUDAGeneratorImplEZZZNS4_16geometric_kernelIS7_EEvRNS_18TensorIteratorBaseEdT_ENKUlvE_clEvENKUlvE_clEvEUlfE_EEvSA_T1_T2_EUlP25hiprandStatePhilox4_32_10E_ZNS1_27distribution_nullary_kernelIhf15HIP_vector_typeIdLj2EES7_SJ_SE_EEvSA_SG_RKT3_T4_EUlifE_EEvlNS_15PhiloxCudaStateESF_SG_.kd
    .uniform_work_group_size: 1
    .uses_dynamic_stack: false
    .vgpr_count:     52
    .vgpr_spill_count: 0
    .wavefront_size: 64
  - .agpr_count:     0
    .args:
      - .offset:         0
        .size:           8
        .value_kind:     by_value
      - .offset:         8
        .size:           32
        .value_kind:     by_value
      - .offset:         40
        .size:           1
        .value_kind:     by_value
      - .offset:         48
        .size:           280
        .value_kind:     by_value
      - .offset:         328
        .size:           4
        .value_kind:     hidden_block_count_x
      - .offset:         332
        .size:           4
        .value_kind:     hidden_block_count_y
      - .offset:         336
        .size:           4
        .value_kind:     hidden_block_count_z
      - .offset:         340
        .size:           2
        .value_kind:     hidden_group_size_x
      - .offset:         342
        .size:           2
        .value_kind:     hidden_group_size_y
      - .offset:         344
        .size:           2
        .value_kind:     hidden_group_size_z
      - .offset:         346
        .size:           2
        .value_kind:     hidden_remainder_x
      - .offset:         348
        .size:           2
        .value_kind:     hidden_remainder_y
      - .offset:         350
        .size:           2
        .value_kind:     hidden_remainder_z
      - .offset:         368
        .size:           8
        .value_kind:     hidden_global_offset_x
      - .offset:         376
        .size:           8
        .value_kind:     hidden_global_offset_y
      - .offset:         384
        .size:           8
        .value_kind:     hidden_global_offset_z
      - .offset:         392
        .size:           2
        .value_kind:     hidden_grid_dims
    .group_segment_fixed_size: 0
    .kernarg_segment_align: 8
    .kernarg_segment_size: 584
    .language:       OpenCL C
    .language_version:
      - 2
      - 0
    .max_flat_workgroup_size: 256
    .name:           _ZN2at6native12_GLOBAL__N_143distribution_elementwise_grid_stride_kernelIfLi4EZNS0_9templates4cuda21uniform_and_transformIhfPNS_17CUDAGeneratorImplEZZZNS4_16geometric_kernelIS7_EEvRNS_18TensorIteratorBaseEdT_ENKUlvE_clEvENKUlvE_clEvEUlfE_EEvSA_T1_T2_EUlP25hiprandStatePhilox4_32_10E_ZNS1_27distribution_nullary_kernelIhf15HIP_vector_typeIdLj2EES7_SJ_SE_EEvSA_SG_RKT3_T4_EUlifE0_EEvlNS_15PhiloxCudaStateESF_SG_
    .private_segment_fixed_size: 0
    .sgpr_count:     74
    .sgpr_spill_count: 0
    .symbol:         _ZN2at6native12_GLOBAL__N_143distribution_elementwise_grid_stride_kernelIfLi4EZNS0_9templates4cuda21uniform_and_transformIhfPNS_17CUDAGeneratorImplEZZZNS4_16geometric_kernelIS7_EEvRNS_18TensorIteratorBaseEdT_ENKUlvE_clEvENKUlvE_clEvEUlfE_EEvSA_T1_T2_EUlP25hiprandStatePhilox4_32_10E_ZNS1_27distribution_nullary_kernelIhf15HIP_vector_typeIdLj2EES7_SJ_SE_EEvSA_SG_RKT3_T4_EUlifE0_EEvlNS_15PhiloxCudaStateESF_SG_.kd
    .uniform_work_group_size: 1
    .uses_dynamic_stack: false
    .vgpr_count:     46
    .vgpr_spill_count: 0
    .wavefront_size: 64
  - .agpr_count:     0
    .args:
      - .offset:         0
        .size:           8
        .value_kind:     by_value
      - .offset:         8
        .size:           32
        .value_kind:     by_value
      - .offset:         40
        .size:           1
        .value_kind:     by_value
      - .offset:         48
        .size:           24
        .value_kind:     by_value
      - .offset:         72
        .size:           4
        .value_kind:     hidden_block_count_x
      - .offset:         76
        .size:           4
        .value_kind:     hidden_block_count_y
      - .offset:         80
        .size:           4
        .value_kind:     hidden_block_count_z
      - .offset:         84
        .size:           2
        .value_kind:     hidden_group_size_x
      - .offset:         86
        .size:           2
        .value_kind:     hidden_group_size_y
      - .offset:         88
        .size:           2
        .value_kind:     hidden_group_size_z
      - .offset:         90
        .size:           2
        .value_kind:     hidden_remainder_x
      - .offset:         92
        .size:           2
        .value_kind:     hidden_remainder_y
      - .offset:         94
        .size:           2
        .value_kind:     hidden_remainder_z
      - .offset:         112
        .size:           8
        .value_kind:     hidden_global_offset_x
      - .offset:         120
        .size:           8
        .value_kind:     hidden_global_offset_y
      - .offset:         128
        .size:           8
        .value_kind:     hidden_global_offset_z
      - .offset:         136
        .size:           2
        .value_kind:     hidden_grid_dims
    .group_segment_fixed_size: 0
    .kernarg_segment_align: 8
    .kernarg_segment_size: 328
    .language:       OpenCL C
    .language_version:
      - 2
      - 0
    .max_flat_workgroup_size: 256
    .name:           _ZN2at6native12_GLOBAL__N_143distribution_elementwise_grid_stride_kernelIfLi4EZNS0_9templates4cuda21uniform_and_transformIhfPNS_17CUDAGeneratorImplEZZZNS4_16geometric_kernelIS7_EEvRNS_18TensorIteratorBaseEdT_ENKUlvE_clEvENKUlvE_clEvEUlfE_EEvSA_T1_T2_EUlP25hiprandStatePhilox4_32_10E0_ZNS1_27distribution_nullary_kernelIhf15HIP_vector_typeIfLj4EES7_SJ_SE_EEvSA_SG_RKT3_T4_EUlifE_EEvlNS_15PhiloxCudaStateESF_SG_
    .private_segment_fixed_size: 0
    .sgpr_count:     30
    .sgpr_spill_count: 0
    .symbol:         _ZN2at6native12_GLOBAL__N_143distribution_elementwise_grid_stride_kernelIfLi4EZNS0_9templates4cuda21uniform_and_transformIhfPNS_17CUDAGeneratorImplEZZZNS4_16geometric_kernelIS7_EEvRNS_18TensorIteratorBaseEdT_ENKUlvE_clEvENKUlvE_clEvEUlfE_EEvSA_T1_T2_EUlP25hiprandStatePhilox4_32_10E0_ZNS1_27distribution_nullary_kernelIhf15HIP_vector_typeIfLj4EES7_SJ_SE_EEvSA_SG_RKT3_T4_EUlifE_EEvlNS_15PhiloxCudaStateESF_SG_.kd
    .uniform_work_group_size: 1
    .uses_dynamic_stack: false
    .vgpr_count:     50
    .vgpr_spill_count: 0
    .wavefront_size: 64
  - .agpr_count:     0
    .args:
      - .offset:         0
        .size:           8
        .value_kind:     by_value
      - .offset:         8
        .size:           32
        .value_kind:     by_value
      - .offset:         40
        .size:           1
        .value_kind:     by_value
      - .offset:         48
        .size:           280
        .value_kind:     by_value
      - .offset:         328
        .size:           4
        .value_kind:     hidden_block_count_x
      - .offset:         332
        .size:           4
        .value_kind:     hidden_block_count_y
      - .offset:         336
        .size:           4
        .value_kind:     hidden_block_count_z
      - .offset:         340
        .size:           2
        .value_kind:     hidden_group_size_x
      - .offset:         342
        .size:           2
        .value_kind:     hidden_group_size_y
      - .offset:         344
        .size:           2
        .value_kind:     hidden_group_size_z
      - .offset:         346
        .size:           2
        .value_kind:     hidden_remainder_x
      - .offset:         348
        .size:           2
        .value_kind:     hidden_remainder_y
      - .offset:         350
        .size:           2
        .value_kind:     hidden_remainder_z
      - .offset:         368
        .size:           8
        .value_kind:     hidden_global_offset_x
      - .offset:         376
        .size:           8
        .value_kind:     hidden_global_offset_y
      - .offset:         384
        .size:           8
        .value_kind:     hidden_global_offset_z
      - .offset:         392
        .size:           2
        .value_kind:     hidden_grid_dims
    .group_segment_fixed_size: 0
    .kernarg_segment_align: 8
    .kernarg_segment_size: 584
    .language:       OpenCL C
    .language_version:
      - 2
      - 0
    .max_flat_workgroup_size: 256
    .name:           _ZN2at6native12_GLOBAL__N_143distribution_elementwise_grid_stride_kernelIfLi4EZNS0_9templates4cuda21uniform_and_transformIhfPNS_17CUDAGeneratorImplEZZZNS4_16geometric_kernelIS7_EEvRNS_18TensorIteratorBaseEdT_ENKUlvE_clEvENKUlvE_clEvEUlfE_EEvSA_T1_T2_EUlP25hiprandStatePhilox4_32_10E0_ZNS1_27distribution_nullary_kernelIhf15HIP_vector_typeIfLj4EES7_SJ_SE_EEvSA_SG_RKT3_T4_EUlifE0_EEvlNS_15PhiloxCudaStateESF_SG_
    .private_segment_fixed_size: 0
    .sgpr_count:     74
    .sgpr_spill_count: 0
    .symbol:         _ZN2at6native12_GLOBAL__N_143distribution_elementwise_grid_stride_kernelIfLi4EZNS0_9templates4cuda21uniform_and_transformIhfPNS_17CUDAGeneratorImplEZZZNS4_16geometric_kernelIS7_EEvRNS_18TensorIteratorBaseEdT_ENKUlvE_clEvENKUlvE_clEvEUlfE_EEvSA_T1_T2_EUlP25hiprandStatePhilox4_32_10E0_ZNS1_27distribution_nullary_kernelIhf15HIP_vector_typeIfLj4EES7_SJ_SE_EEvSA_SG_RKT3_T4_EUlifE0_EEvlNS_15PhiloxCudaStateESF_SG_.kd
    .uniform_work_group_size: 1
    .uses_dynamic_stack: false
    .vgpr_count:     44
    .vgpr_spill_count: 0
    .wavefront_size: 64
  - .agpr_count:     0
    .args:
      - .offset:         0
        .size:           8
        .value_kind:     by_value
      - .offset:         8
        .size:           32
        .value_kind:     by_value
      - .offset:         40
        .size:           1
        .value_kind:     by_value
      - .offset:         48
        .size:           24
        .value_kind:     by_value
      - .offset:         72
        .size:           4
        .value_kind:     hidden_block_count_x
      - .offset:         76
        .size:           4
        .value_kind:     hidden_block_count_y
      - .offset:         80
        .size:           4
        .value_kind:     hidden_block_count_z
      - .offset:         84
        .size:           2
        .value_kind:     hidden_group_size_x
      - .offset:         86
        .size:           2
        .value_kind:     hidden_group_size_y
      - .offset:         88
        .size:           2
        .value_kind:     hidden_group_size_z
      - .offset:         90
        .size:           2
        .value_kind:     hidden_remainder_x
      - .offset:         92
        .size:           2
        .value_kind:     hidden_remainder_y
      - .offset:         94
        .size:           2
        .value_kind:     hidden_remainder_z
      - .offset:         112
        .size:           8
        .value_kind:     hidden_global_offset_x
      - .offset:         120
        .size:           8
        .value_kind:     hidden_global_offset_y
      - .offset:         128
        .size:           8
        .value_kind:     hidden_global_offset_z
      - .offset:         136
        .size:           2
        .value_kind:     hidden_grid_dims
    .group_segment_fixed_size: 0
    .kernarg_segment_align: 8
    .kernarg_segment_size: 328
    .language:       OpenCL C
    .language_version:
      - 2
      - 0
    .max_flat_workgroup_size: 256
    .name:           _ZN2at6native12_GLOBAL__N_143distribution_elementwise_grid_stride_kernelIfLi4EZNS0_9templates4cuda21uniform_and_transformIafPNS_17CUDAGeneratorImplEZZZNS4_16geometric_kernelIS7_EEvRNS_18TensorIteratorBaseEdT_ENKUlvE_clEvENKUlvE0_clEvEUlfE_EEvSA_T1_T2_EUlP25hiprandStatePhilox4_32_10E_ZNS1_27distribution_nullary_kernelIaf15HIP_vector_typeIdLj2EES7_SJ_SE_EEvSA_SG_RKT3_T4_EUlifE_EEvlNS_15PhiloxCudaStateESF_SG_
    .private_segment_fixed_size: 0
    .sgpr_count:     30
    .sgpr_spill_count: 0
    .symbol:         _ZN2at6native12_GLOBAL__N_143distribution_elementwise_grid_stride_kernelIfLi4EZNS0_9templates4cuda21uniform_and_transformIafPNS_17CUDAGeneratorImplEZZZNS4_16geometric_kernelIS7_EEvRNS_18TensorIteratorBaseEdT_ENKUlvE_clEvENKUlvE0_clEvEUlfE_EEvSA_T1_T2_EUlP25hiprandStatePhilox4_32_10E_ZNS1_27distribution_nullary_kernelIaf15HIP_vector_typeIdLj2EES7_SJ_SE_EEvSA_SG_RKT3_T4_EUlifE_EEvlNS_15PhiloxCudaStateESF_SG_.kd
    .uniform_work_group_size: 1
    .uses_dynamic_stack: false
    .vgpr_count:     52
    .vgpr_spill_count: 0
    .wavefront_size: 64
  - .agpr_count:     0
    .args:
      - .offset:         0
        .size:           8
        .value_kind:     by_value
      - .offset:         8
        .size:           32
        .value_kind:     by_value
      - .offset:         40
        .size:           1
        .value_kind:     by_value
      - .offset:         48
        .size:           280
        .value_kind:     by_value
      - .offset:         328
        .size:           4
        .value_kind:     hidden_block_count_x
      - .offset:         332
        .size:           4
        .value_kind:     hidden_block_count_y
      - .offset:         336
        .size:           4
        .value_kind:     hidden_block_count_z
      - .offset:         340
        .size:           2
        .value_kind:     hidden_group_size_x
      - .offset:         342
        .size:           2
        .value_kind:     hidden_group_size_y
      - .offset:         344
        .size:           2
        .value_kind:     hidden_group_size_z
      - .offset:         346
        .size:           2
        .value_kind:     hidden_remainder_x
      - .offset:         348
        .size:           2
        .value_kind:     hidden_remainder_y
      - .offset:         350
        .size:           2
        .value_kind:     hidden_remainder_z
      - .offset:         368
        .size:           8
        .value_kind:     hidden_global_offset_x
      - .offset:         376
        .size:           8
        .value_kind:     hidden_global_offset_y
      - .offset:         384
        .size:           8
        .value_kind:     hidden_global_offset_z
      - .offset:         392
        .size:           2
        .value_kind:     hidden_grid_dims
    .group_segment_fixed_size: 0
    .kernarg_segment_align: 8
    .kernarg_segment_size: 584
    .language:       OpenCL C
    .language_version:
      - 2
      - 0
    .max_flat_workgroup_size: 256
    .name:           _ZN2at6native12_GLOBAL__N_143distribution_elementwise_grid_stride_kernelIfLi4EZNS0_9templates4cuda21uniform_and_transformIafPNS_17CUDAGeneratorImplEZZZNS4_16geometric_kernelIS7_EEvRNS_18TensorIteratorBaseEdT_ENKUlvE_clEvENKUlvE0_clEvEUlfE_EEvSA_T1_T2_EUlP25hiprandStatePhilox4_32_10E_ZNS1_27distribution_nullary_kernelIaf15HIP_vector_typeIdLj2EES7_SJ_SE_EEvSA_SG_RKT3_T4_EUlifE0_EEvlNS_15PhiloxCudaStateESF_SG_
    .private_segment_fixed_size: 0
    .sgpr_count:     74
    .sgpr_spill_count: 0
    .symbol:         _ZN2at6native12_GLOBAL__N_143distribution_elementwise_grid_stride_kernelIfLi4EZNS0_9templates4cuda21uniform_and_transformIafPNS_17CUDAGeneratorImplEZZZNS4_16geometric_kernelIS7_EEvRNS_18TensorIteratorBaseEdT_ENKUlvE_clEvENKUlvE0_clEvEUlfE_EEvSA_T1_T2_EUlP25hiprandStatePhilox4_32_10E_ZNS1_27distribution_nullary_kernelIaf15HIP_vector_typeIdLj2EES7_SJ_SE_EEvSA_SG_RKT3_T4_EUlifE0_EEvlNS_15PhiloxCudaStateESF_SG_.kd
    .uniform_work_group_size: 1
    .uses_dynamic_stack: false
    .vgpr_count:     46
    .vgpr_spill_count: 0
    .wavefront_size: 64
  - .agpr_count:     0
    .args:
      - .offset:         0
        .size:           8
        .value_kind:     by_value
      - .offset:         8
        .size:           32
        .value_kind:     by_value
      - .offset:         40
        .size:           1
        .value_kind:     by_value
      - .offset:         48
        .size:           24
        .value_kind:     by_value
      - .offset:         72
        .size:           4
        .value_kind:     hidden_block_count_x
      - .offset:         76
        .size:           4
        .value_kind:     hidden_block_count_y
      - .offset:         80
        .size:           4
        .value_kind:     hidden_block_count_z
      - .offset:         84
        .size:           2
        .value_kind:     hidden_group_size_x
      - .offset:         86
        .size:           2
        .value_kind:     hidden_group_size_y
      - .offset:         88
        .size:           2
        .value_kind:     hidden_group_size_z
      - .offset:         90
        .size:           2
        .value_kind:     hidden_remainder_x
      - .offset:         92
        .size:           2
        .value_kind:     hidden_remainder_y
      - .offset:         94
        .size:           2
        .value_kind:     hidden_remainder_z
      - .offset:         112
        .size:           8
        .value_kind:     hidden_global_offset_x
      - .offset:         120
        .size:           8
        .value_kind:     hidden_global_offset_y
      - .offset:         128
        .size:           8
        .value_kind:     hidden_global_offset_z
      - .offset:         136
        .size:           2
        .value_kind:     hidden_grid_dims
    .group_segment_fixed_size: 0
    .kernarg_segment_align: 8
    .kernarg_segment_size: 328
    .language:       OpenCL C
    .language_version:
      - 2
      - 0
    .max_flat_workgroup_size: 256
    .name:           _ZN2at6native12_GLOBAL__N_143distribution_elementwise_grid_stride_kernelIfLi4EZNS0_9templates4cuda21uniform_and_transformIafPNS_17CUDAGeneratorImplEZZZNS4_16geometric_kernelIS7_EEvRNS_18TensorIteratorBaseEdT_ENKUlvE_clEvENKUlvE0_clEvEUlfE_EEvSA_T1_T2_EUlP25hiprandStatePhilox4_32_10E0_ZNS1_27distribution_nullary_kernelIaf15HIP_vector_typeIfLj4EES7_SJ_SE_EEvSA_SG_RKT3_T4_EUlifE_EEvlNS_15PhiloxCudaStateESF_SG_
    .private_segment_fixed_size: 0
    .sgpr_count:     30
    .sgpr_spill_count: 0
    .symbol:         _ZN2at6native12_GLOBAL__N_143distribution_elementwise_grid_stride_kernelIfLi4EZNS0_9templates4cuda21uniform_and_transformIafPNS_17CUDAGeneratorImplEZZZNS4_16geometric_kernelIS7_EEvRNS_18TensorIteratorBaseEdT_ENKUlvE_clEvENKUlvE0_clEvEUlfE_EEvSA_T1_T2_EUlP25hiprandStatePhilox4_32_10E0_ZNS1_27distribution_nullary_kernelIaf15HIP_vector_typeIfLj4EES7_SJ_SE_EEvSA_SG_RKT3_T4_EUlifE_EEvlNS_15PhiloxCudaStateESF_SG_.kd
    .uniform_work_group_size: 1
    .uses_dynamic_stack: false
    .vgpr_count:     50
    .vgpr_spill_count: 0
    .wavefront_size: 64
  - .agpr_count:     0
    .args:
      - .offset:         0
        .size:           8
        .value_kind:     by_value
      - .offset:         8
        .size:           32
        .value_kind:     by_value
      - .offset:         40
        .size:           1
        .value_kind:     by_value
      - .offset:         48
        .size:           280
        .value_kind:     by_value
      - .offset:         328
        .size:           4
        .value_kind:     hidden_block_count_x
      - .offset:         332
        .size:           4
        .value_kind:     hidden_block_count_y
      - .offset:         336
        .size:           4
        .value_kind:     hidden_block_count_z
      - .offset:         340
        .size:           2
        .value_kind:     hidden_group_size_x
      - .offset:         342
        .size:           2
        .value_kind:     hidden_group_size_y
      - .offset:         344
        .size:           2
        .value_kind:     hidden_group_size_z
      - .offset:         346
        .size:           2
        .value_kind:     hidden_remainder_x
      - .offset:         348
        .size:           2
        .value_kind:     hidden_remainder_y
      - .offset:         350
        .size:           2
        .value_kind:     hidden_remainder_z
      - .offset:         368
        .size:           8
        .value_kind:     hidden_global_offset_x
      - .offset:         376
        .size:           8
        .value_kind:     hidden_global_offset_y
      - .offset:         384
        .size:           8
        .value_kind:     hidden_global_offset_z
      - .offset:         392
        .size:           2
        .value_kind:     hidden_grid_dims
    .group_segment_fixed_size: 0
    .kernarg_segment_align: 8
    .kernarg_segment_size: 584
    .language:       OpenCL C
    .language_version:
      - 2
      - 0
    .max_flat_workgroup_size: 256
    .name:           _ZN2at6native12_GLOBAL__N_143distribution_elementwise_grid_stride_kernelIfLi4EZNS0_9templates4cuda21uniform_and_transformIafPNS_17CUDAGeneratorImplEZZZNS4_16geometric_kernelIS7_EEvRNS_18TensorIteratorBaseEdT_ENKUlvE_clEvENKUlvE0_clEvEUlfE_EEvSA_T1_T2_EUlP25hiprandStatePhilox4_32_10E0_ZNS1_27distribution_nullary_kernelIaf15HIP_vector_typeIfLj4EES7_SJ_SE_EEvSA_SG_RKT3_T4_EUlifE0_EEvlNS_15PhiloxCudaStateESF_SG_
    .private_segment_fixed_size: 0
    .sgpr_count:     74
    .sgpr_spill_count: 0
    .symbol:         _ZN2at6native12_GLOBAL__N_143distribution_elementwise_grid_stride_kernelIfLi4EZNS0_9templates4cuda21uniform_and_transformIafPNS_17CUDAGeneratorImplEZZZNS4_16geometric_kernelIS7_EEvRNS_18TensorIteratorBaseEdT_ENKUlvE_clEvENKUlvE0_clEvEUlfE_EEvSA_T1_T2_EUlP25hiprandStatePhilox4_32_10E0_ZNS1_27distribution_nullary_kernelIaf15HIP_vector_typeIfLj4EES7_SJ_SE_EEvSA_SG_RKT3_T4_EUlifE0_EEvlNS_15PhiloxCudaStateESF_SG_.kd
    .uniform_work_group_size: 1
    .uses_dynamic_stack: false
    .vgpr_count:     44
    .vgpr_spill_count: 0
    .wavefront_size: 64
  - .agpr_count:     0
    .args:
      - .offset:         0
        .size:           8
        .value_kind:     by_value
      - .offset:         8
        .size:           32
        .value_kind:     by_value
      - .offset:         40
        .size:           1
        .value_kind:     by_value
      - .offset:         48
        .size:           24
        .value_kind:     by_value
      - .offset:         72
        .size:           4
        .value_kind:     hidden_block_count_x
      - .offset:         76
        .size:           4
        .value_kind:     hidden_block_count_y
      - .offset:         80
        .size:           4
        .value_kind:     hidden_block_count_z
      - .offset:         84
        .size:           2
        .value_kind:     hidden_group_size_x
      - .offset:         86
        .size:           2
        .value_kind:     hidden_group_size_y
      - .offset:         88
        .size:           2
        .value_kind:     hidden_group_size_z
      - .offset:         90
        .size:           2
        .value_kind:     hidden_remainder_x
      - .offset:         92
        .size:           2
        .value_kind:     hidden_remainder_y
      - .offset:         94
        .size:           2
        .value_kind:     hidden_remainder_z
      - .offset:         112
        .size:           8
        .value_kind:     hidden_global_offset_x
      - .offset:         120
        .size:           8
        .value_kind:     hidden_global_offset_y
      - .offset:         128
        .size:           8
        .value_kind:     hidden_global_offset_z
      - .offset:         136
        .size:           2
        .value_kind:     hidden_grid_dims
    .group_segment_fixed_size: 0
    .kernarg_segment_align: 8
    .kernarg_segment_size: 328
    .language:       OpenCL C
    .language_version:
      - 2
      - 0
    .max_flat_workgroup_size: 256
    .name:           _ZN2at6native12_GLOBAL__N_143distribution_elementwise_grid_stride_kernelIfLi4EZNS0_9templates4cuda21uniform_and_transformIifPNS_17CUDAGeneratorImplEZZZNS4_16geometric_kernelIS7_EEvRNS_18TensorIteratorBaseEdT_ENKUlvE_clEvENKUlvE1_clEvEUlfE_EEvSA_T1_T2_EUlP25hiprandStatePhilox4_32_10E_ZNS1_27distribution_nullary_kernelIif15HIP_vector_typeIdLj2EES7_SJ_SE_EEvSA_SG_RKT3_T4_EUlifE_EEvlNS_15PhiloxCudaStateESF_SG_
    .private_segment_fixed_size: 0
    .sgpr_count:     30
    .sgpr_spill_count: 0
    .symbol:         _ZN2at6native12_GLOBAL__N_143distribution_elementwise_grid_stride_kernelIfLi4EZNS0_9templates4cuda21uniform_and_transformIifPNS_17CUDAGeneratorImplEZZZNS4_16geometric_kernelIS7_EEvRNS_18TensorIteratorBaseEdT_ENKUlvE_clEvENKUlvE1_clEvEUlfE_EEvSA_T1_T2_EUlP25hiprandStatePhilox4_32_10E_ZNS1_27distribution_nullary_kernelIif15HIP_vector_typeIdLj2EES7_SJ_SE_EEvSA_SG_RKT3_T4_EUlifE_EEvlNS_15PhiloxCudaStateESF_SG_.kd
    .uniform_work_group_size: 1
    .uses_dynamic_stack: false
    .vgpr_count:     52
    .vgpr_spill_count: 0
    .wavefront_size: 64
  - .agpr_count:     0
    .args:
      - .offset:         0
        .size:           8
        .value_kind:     by_value
      - .offset:         8
        .size:           32
        .value_kind:     by_value
      - .offset:         40
        .size:           1
        .value_kind:     by_value
      - .offset:         48
        .size:           280
        .value_kind:     by_value
      - .offset:         328
        .size:           4
        .value_kind:     hidden_block_count_x
      - .offset:         332
        .size:           4
        .value_kind:     hidden_block_count_y
      - .offset:         336
        .size:           4
        .value_kind:     hidden_block_count_z
      - .offset:         340
        .size:           2
        .value_kind:     hidden_group_size_x
      - .offset:         342
        .size:           2
        .value_kind:     hidden_group_size_y
      - .offset:         344
        .size:           2
        .value_kind:     hidden_group_size_z
      - .offset:         346
        .size:           2
        .value_kind:     hidden_remainder_x
      - .offset:         348
        .size:           2
        .value_kind:     hidden_remainder_y
      - .offset:         350
        .size:           2
        .value_kind:     hidden_remainder_z
      - .offset:         368
        .size:           8
        .value_kind:     hidden_global_offset_x
      - .offset:         376
        .size:           8
        .value_kind:     hidden_global_offset_y
      - .offset:         384
        .size:           8
        .value_kind:     hidden_global_offset_z
      - .offset:         392
        .size:           2
        .value_kind:     hidden_grid_dims
    .group_segment_fixed_size: 0
    .kernarg_segment_align: 8
    .kernarg_segment_size: 584
    .language:       OpenCL C
    .language_version:
      - 2
      - 0
    .max_flat_workgroup_size: 256
    .name:           _ZN2at6native12_GLOBAL__N_143distribution_elementwise_grid_stride_kernelIfLi4EZNS0_9templates4cuda21uniform_and_transformIifPNS_17CUDAGeneratorImplEZZZNS4_16geometric_kernelIS7_EEvRNS_18TensorIteratorBaseEdT_ENKUlvE_clEvENKUlvE1_clEvEUlfE_EEvSA_T1_T2_EUlP25hiprandStatePhilox4_32_10E_ZNS1_27distribution_nullary_kernelIif15HIP_vector_typeIdLj2EES7_SJ_SE_EEvSA_SG_RKT3_T4_EUlifE0_EEvlNS_15PhiloxCudaStateESF_SG_
    .private_segment_fixed_size: 0
    .sgpr_count:     74
    .sgpr_spill_count: 0
    .symbol:         _ZN2at6native12_GLOBAL__N_143distribution_elementwise_grid_stride_kernelIfLi4EZNS0_9templates4cuda21uniform_and_transformIifPNS_17CUDAGeneratorImplEZZZNS4_16geometric_kernelIS7_EEvRNS_18TensorIteratorBaseEdT_ENKUlvE_clEvENKUlvE1_clEvEUlfE_EEvSA_T1_T2_EUlP25hiprandStatePhilox4_32_10E_ZNS1_27distribution_nullary_kernelIif15HIP_vector_typeIdLj2EES7_SJ_SE_EEvSA_SG_RKT3_T4_EUlifE0_EEvlNS_15PhiloxCudaStateESF_SG_.kd
    .uniform_work_group_size: 1
    .uses_dynamic_stack: false
    .vgpr_count:     46
    .vgpr_spill_count: 0
    .wavefront_size: 64
  - .agpr_count:     0
    .args:
      - .offset:         0
        .size:           8
        .value_kind:     by_value
      - .offset:         8
        .size:           32
        .value_kind:     by_value
      - .offset:         40
        .size:           1
        .value_kind:     by_value
      - .offset:         48
        .size:           24
        .value_kind:     by_value
      - .offset:         72
        .size:           4
        .value_kind:     hidden_block_count_x
      - .offset:         76
        .size:           4
        .value_kind:     hidden_block_count_y
      - .offset:         80
        .size:           4
        .value_kind:     hidden_block_count_z
      - .offset:         84
        .size:           2
        .value_kind:     hidden_group_size_x
      - .offset:         86
        .size:           2
        .value_kind:     hidden_group_size_y
      - .offset:         88
        .size:           2
        .value_kind:     hidden_group_size_z
      - .offset:         90
        .size:           2
        .value_kind:     hidden_remainder_x
      - .offset:         92
        .size:           2
        .value_kind:     hidden_remainder_y
      - .offset:         94
        .size:           2
        .value_kind:     hidden_remainder_z
      - .offset:         112
        .size:           8
        .value_kind:     hidden_global_offset_x
      - .offset:         120
        .size:           8
        .value_kind:     hidden_global_offset_y
      - .offset:         128
        .size:           8
        .value_kind:     hidden_global_offset_z
      - .offset:         136
        .size:           2
        .value_kind:     hidden_grid_dims
    .group_segment_fixed_size: 0
    .kernarg_segment_align: 8
    .kernarg_segment_size: 328
    .language:       OpenCL C
    .language_version:
      - 2
      - 0
    .max_flat_workgroup_size: 256
    .name:           _ZN2at6native12_GLOBAL__N_143distribution_elementwise_grid_stride_kernelIfLi4EZNS0_9templates4cuda21uniform_and_transformIifPNS_17CUDAGeneratorImplEZZZNS4_16geometric_kernelIS7_EEvRNS_18TensorIteratorBaseEdT_ENKUlvE_clEvENKUlvE1_clEvEUlfE_EEvSA_T1_T2_EUlP25hiprandStatePhilox4_32_10E0_ZNS1_27distribution_nullary_kernelIif15HIP_vector_typeIfLj4EES7_SJ_SE_EEvSA_SG_RKT3_T4_EUlifE_EEvlNS_15PhiloxCudaStateESF_SG_
    .private_segment_fixed_size: 0
    .sgpr_count:     30
    .sgpr_spill_count: 0
    .symbol:         _ZN2at6native12_GLOBAL__N_143distribution_elementwise_grid_stride_kernelIfLi4EZNS0_9templates4cuda21uniform_and_transformIifPNS_17CUDAGeneratorImplEZZZNS4_16geometric_kernelIS7_EEvRNS_18TensorIteratorBaseEdT_ENKUlvE_clEvENKUlvE1_clEvEUlfE_EEvSA_T1_T2_EUlP25hiprandStatePhilox4_32_10E0_ZNS1_27distribution_nullary_kernelIif15HIP_vector_typeIfLj4EES7_SJ_SE_EEvSA_SG_RKT3_T4_EUlifE_EEvlNS_15PhiloxCudaStateESF_SG_.kd
    .uniform_work_group_size: 1
    .uses_dynamic_stack: false
    .vgpr_count:     50
    .vgpr_spill_count: 0
    .wavefront_size: 64
  - .agpr_count:     0
    .args:
      - .offset:         0
        .size:           8
        .value_kind:     by_value
      - .offset:         8
        .size:           32
        .value_kind:     by_value
      - .offset:         40
        .size:           1
        .value_kind:     by_value
      - .offset:         48
        .size:           280
        .value_kind:     by_value
      - .offset:         328
        .size:           4
        .value_kind:     hidden_block_count_x
      - .offset:         332
        .size:           4
        .value_kind:     hidden_block_count_y
      - .offset:         336
        .size:           4
        .value_kind:     hidden_block_count_z
      - .offset:         340
        .size:           2
        .value_kind:     hidden_group_size_x
      - .offset:         342
        .size:           2
        .value_kind:     hidden_group_size_y
      - .offset:         344
        .size:           2
        .value_kind:     hidden_group_size_z
      - .offset:         346
        .size:           2
        .value_kind:     hidden_remainder_x
      - .offset:         348
        .size:           2
        .value_kind:     hidden_remainder_y
      - .offset:         350
        .size:           2
        .value_kind:     hidden_remainder_z
      - .offset:         368
        .size:           8
        .value_kind:     hidden_global_offset_x
      - .offset:         376
        .size:           8
        .value_kind:     hidden_global_offset_y
      - .offset:         384
        .size:           8
        .value_kind:     hidden_global_offset_z
      - .offset:         392
        .size:           2
        .value_kind:     hidden_grid_dims
    .group_segment_fixed_size: 0
    .kernarg_segment_align: 8
    .kernarg_segment_size: 584
    .language:       OpenCL C
    .language_version:
      - 2
      - 0
    .max_flat_workgroup_size: 256
    .name:           _ZN2at6native12_GLOBAL__N_143distribution_elementwise_grid_stride_kernelIfLi4EZNS0_9templates4cuda21uniform_and_transformIifPNS_17CUDAGeneratorImplEZZZNS4_16geometric_kernelIS7_EEvRNS_18TensorIteratorBaseEdT_ENKUlvE_clEvENKUlvE1_clEvEUlfE_EEvSA_T1_T2_EUlP25hiprandStatePhilox4_32_10E0_ZNS1_27distribution_nullary_kernelIif15HIP_vector_typeIfLj4EES7_SJ_SE_EEvSA_SG_RKT3_T4_EUlifE0_EEvlNS_15PhiloxCudaStateESF_SG_
    .private_segment_fixed_size: 0
    .sgpr_count:     74
    .sgpr_spill_count: 0
    .symbol:         _ZN2at6native12_GLOBAL__N_143distribution_elementwise_grid_stride_kernelIfLi4EZNS0_9templates4cuda21uniform_and_transformIifPNS_17CUDAGeneratorImplEZZZNS4_16geometric_kernelIS7_EEvRNS_18TensorIteratorBaseEdT_ENKUlvE_clEvENKUlvE1_clEvEUlfE_EEvSA_T1_T2_EUlP25hiprandStatePhilox4_32_10E0_ZNS1_27distribution_nullary_kernelIif15HIP_vector_typeIfLj4EES7_SJ_SE_EEvSA_SG_RKT3_T4_EUlifE0_EEvlNS_15PhiloxCudaStateESF_SG_.kd
    .uniform_work_group_size: 1
    .uses_dynamic_stack: false
    .vgpr_count:     44
    .vgpr_spill_count: 0
    .wavefront_size: 64
  - .agpr_count:     0
    .args:
      - .offset:         0
        .size:           8
        .value_kind:     by_value
      - .offset:         8
        .size:           32
        .value_kind:     by_value
      - .offset:         40
        .size:           1
        .value_kind:     by_value
      - .offset:         48
        .size:           24
        .value_kind:     by_value
      - .offset:         72
        .size:           4
        .value_kind:     hidden_block_count_x
      - .offset:         76
        .size:           4
        .value_kind:     hidden_block_count_y
      - .offset:         80
        .size:           4
        .value_kind:     hidden_block_count_z
      - .offset:         84
        .size:           2
        .value_kind:     hidden_group_size_x
      - .offset:         86
        .size:           2
        .value_kind:     hidden_group_size_y
      - .offset:         88
        .size:           2
        .value_kind:     hidden_group_size_z
      - .offset:         90
        .size:           2
        .value_kind:     hidden_remainder_x
      - .offset:         92
        .size:           2
        .value_kind:     hidden_remainder_y
      - .offset:         94
        .size:           2
        .value_kind:     hidden_remainder_z
      - .offset:         112
        .size:           8
        .value_kind:     hidden_global_offset_x
      - .offset:         120
        .size:           8
        .value_kind:     hidden_global_offset_y
      - .offset:         128
        .size:           8
        .value_kind:     hidden_global_offset_z
      - .offset:         136
        .size:           2
        .value_kind:     hidden_grid_dims
    .group_segment_fixed_size: 0
    .kernarg_segment_align: 8
    .kernarg_segment_size: 328
    .language:       OpenCL C
    .language_version:
      - 2
      - 0
    .max_flat_workgroup_size: 256
    .name:           _ZN2at6native12_GLOBAL__N_143distribution_elementwise_grid_stride_kernelIfLi4EZNS0_9templates4cuda21uniform_and_transformIlfPNS_17CUDAGeneratorImplEZZZNS4_16geometric_kernelIS7_EEvRNS_18TensorIteratorBaseEdT_ENKUlvE_clEvENKUlvE2_clEvEUlfE_EEvSA_T1_T2_EUlP25hiprandStatePhilox4_32_10E_ZNS1_27distribution_nullary_kernelIlf15HIP_vector_typeIdLj2EES7_SJ_SE_EEvSA_SG_RKT3_T4_EUlifE_EEvlNS_15PhiloxCudaStateESF_SG_
    .private_segment_fixed_size: 0
    .sgpr_count:     32
    .sgpr_spill_count: 0
    .symbol:         _ZN2at6native12_GLOBAL__N_143distribution_elementwise_grid_stride_kernelIfLi4EZNS0_9templates4cuda21uniform_and_transformIlfPNS_17CUDAGeneratorImplEZZZNS4_16geometric_kernelIS7_EEvRNS_18TensorIteratorBaseEdT_ENKUlvE_clEvENKUlvE2_clEvEUlfE_EEvSA_T1_T2_EUlP25hiprandStatePhilox4_32_10E_ZNS1_27distribution_nullary_kernelIlf15HIP_vector_typeIdLj2EES7_SJ_SE_EEvSA_SG_RKT3_T4_EUlifE_EEvlNS_15PhiloxCudaStateESF_SG_.kd
    .uniform_work_group_size: 1
    .uses_dynamic_stack: false
    .vgpr_count:     52
    .vgpr_spill_count: 0
    .wavefront_size: 64
  - .agpr_count:     0
    .args:
      - .offset:         0
        .size:           8
        .value_kind:     by_value
      - .offset:         8
        .size:           32
        .value_kind:     by_value
      - .offset:         40
        .size:           1
        .value_kind:     by_value
      - .offset:         48
        .size:           280
        .value_kind:     by_value
      - .offset:         328
        .size:           4
        .value_kind:     hidden_block_count_x
      - .offset:         332
        .size:           4
        .value_kind:     hidden_block_count_y
      - .offset:         336
        .size:           4
        .value_kind:     hidden_block_count_z
      - .offset:         340
        .size:           2
        .value_kind:     hidden_group_size_x
      - .offset:         342
        .size:           2
        .value_kind:     hidden_group_size_y
      - .offset:         344
        .size:           2
        .value_kind:     hidden_group_size_z
      - .offset:         346
        .size:           2
        .value_kind:     hidden_remainder_x
      - .offset:         348
        .size:           2
        .value_kind:     hidden_remainder_y
      - .offset:         350
        .size:           2
        .value_kind:     hidden_remainder_z
      - .offset:         368
        .size:           8
        .value_kind:     hidden_global_offset_x
      - .offset:         376
        .size:           8
        .value_kind:     hidden_global_offset_y
      - .offset:         384
        .size:           8
        .value_kind:     hidden_global_offset_z
      - .offset:         392
        .size:           2
        .value_kind:     hidden_grid_dims
    .group_segment_fixed_size: 0
    .kernarg_segment_align: 8
    .kernarg_segment_size: 584
    .language:       OpenCL C
    .language_version:
      - 2
      - 0
    .max_flat_workgroup_size: 256
    .name:           _ZN2at6native12_GLOBAL__N_143distribution_elementwise_grid_stride_kernelIfLi4EZNS0_9templates4cuda21uniform_and_transformIlfPNS_17CUDAGeneratorImplEZZZNS4_16geometric_kernelIS7_EEvRNS_18TensorIteratorBaseEdT_ENKUlvE_clEvENKUlvE2_clEvEUlfE_EEvSA_T1_T2_EUlP25hiprandStatePhilox4_32_10E_ZNS1_27distribution_nullary_kernelIlf15HIP_vector_typeIdLj2EES7_SJ_SE_EEvSA_SG_RKT3_T4_EUlifE0_EEvlNS_15PhiloxCudaStateESF_SG_
    .private_segment_fixed_size: 0
    .sgpr_count:     76
    .sgpr_spill_count: 0
    .symbol:         _ZN2at6native12_GLOBAL__N_143distribution_elementwise_grid_stride_kernelIfLi4EZNS0_9templates4cuda21uniform_and_transformIlfPNS_17CUDAGeneratorImplEZZZNS4_16geometric_kernelIS7_EEvRNS_18TensorIteratorBaseEdT_ENKUlvE_clEvENKUlvE2_clEvEUlfE_EEvSA_T1_T2_EUlP25hiprandStatePhilox4_32_10E_ZNS1_27distribution_nullary_kernelIlf15HIP_vector_typeIdLj2EES7_SJ_SE_EEvSA_SG_RKT3_T4_EUlifE0_EEvlNS_15PhiloxCudaStateESF_SG_.kd
    .uniform_work_group_size: 1
    .uses_dynamic_stack: false
    .vgpr_count:     46
    .vgpr_spill_count: 0
    .wavefront_size: 64
  - .agpr_count:     0
    .args:
      - .offset:         0
        .size:           8
        .value_kind:     by_value
      - .offset:         8
        .size:           32
        .value_kind:     by_value
      - .offset:         40
        .size:           1
        .value_kind:     by_value
      - .offset:         48
        .size:           24
        .value_kind:     by_value
      - .offset:         72
        .size:           4
        .value_kind:     hidden_block_count_x
      - .offset:         76
        .size:           4
        .value_kind:     hidden_block_count_y
      - .offset:         80
        .size:           4
        .value_kind:     hidden_block_count_z
      - .offset:         84
        .size:           2
        .value_kind:     hidden_group_size_x
      - .offset:         86
        .size:           2
        .value_kind:     hidden_group_size_y
      - .offset:         88
        .size:           2
        .value_kind:     hidden_group_size_z
      - .offset:         90
        .size:           2
        .value_kind:     hidden_remainder_x
      - .offset:         92
        .size:           2
        .value_kind:     hidden_remainder_y
      - .offset:         94
        .size:           2
        .value_kind:     hidden_remainder_z
      - .offset:         112
        .size:           8
        .value_kind:     hidden_global_offset_x
      - .offset:         120
        .size:           8
        .value_kind:     hidden_global_offset_y
      - .offset:         128
        .size:           8
        .value_kind:     hidden_global_offset_z
      - .offset:         136
        .size:           2
        .value_kind:     hidden_grid_dims
    .group_segment_fixed_size: 0
    .kernarg_segment_align: 8
    .kernarg_segment_size: 328
    .language:       OpenCL C
    .language_version:
      - 2
      - 0
    .max_flat_workgroup_size: 256
    .name:           _ZN2at6native12_GLOBAL__N_143distribution_elementwise_grid_stride_kernelIfLi4EZNS0_9templates4cuda21uniform_and_transformIlfPNS_17CUDAGeneratorImplEZZZNS4_16geometric_kernelIS7_EEvRNS_18TensorIteratorBaseEdT_ENKUlvE_clEvENKUlvE2_clEvEUlfE_EEvSA_T1_T2_EUlP25hiprandStatePhilox4_32_10E0_ZNS1_27distribution_nullary_kernelIlf15HIP_vector_typeIfLj4EES7_SJ_SE_EEvSA_SG_RKT3_T4_EUlifE_EEvlNS_15PhiloxCudaStateESF_SG_
    .private_segment_fixed_size: 0
    .sgpr_count:     31
    .sgpr_spill_count: 0
    .symbol:         _ZN2at6native12_GLOBAL__N_143distribution_elementwise_grid_stride_kernelIfLi4EZNS0_9templates4cuda21uniform_and_transformIlfPNS_17CUDAGeneratorImplEZZZNS4_16geometric_kernelIS7_EEvRNS_18TensorIteratorBaseEdT_ENKUlvE_clEvENKUlvE2_clEvEUlfE_EEvSA_T1_T2_EUlP25hiprandStatePhilox4_32_10E0_ZNS1_27distribution_nullary_kernelIlf15HIP_vector_typeIfLj4EES7_SJ_SE_EEvSA_SG_RKT3_T4_EUlifE_EEvlNS_15PhiloxCudaStateESF_SG_.kd
    .uniform_work_group_size: 1
    .uses_dynamic_stack: false
    .vgpr_count:     52
    .vgpr_spill_count: 0
    .wavefront_size: 64
  - .agpr_count:     0
    .args:
      - .offset:         0
        .size:           8
        .value_kind:     by_value
      - .offset:         8
        .size:           32
        .value_kind:     by_value
      - .offset:         40
        .size:           1
        .value_kind:     by_value
      - .offset:         48
        .size:           280
        .value_kind:     by_value
      - .offset:         328
        .size:           4
        .value_kind:     hidden_block_count_x
      - .offset:         332
        .size:           4
        .value_kind:     hidden_block_count_y
      - .offset:         336
        .size:           4
        .value_kind:     hidden_block_count_z
      - .offset:         340
        .size:           2
        .value_kind:     hidden_group_size_x
      - .offset:         342
        .size:           2
        .value_kind:     hidden_group_size_y
      - .offset:         344
        .size:           2
        .value_kind:     hidden_group_size_z
      - .offset:         346
        .size:           2
        .value_kind:     hidden_remainder_x
      - .offset:         348
        .size:           2
        .value_kind:     hidden_remainder_y
      - .offset:         350
        .size:           2
        .value_kind:     hidden_remainder_z
      - .offset:         368
        .size:           8
        .value_kind:     hidden_global_offset_x
      - .offset:         376
        .size:           8
        .value_kind:     hidden_global_offset_y
      - .offset:         384
        .size:           8
        .value_kind:     hidden_global_offset_z
      - .offset:         392
        .size:           2
        .value_kind:     hidden_grid_dims
    .group_segment_fixed_size: 0
    .kernarg_segment_align: 8
    .kernarg_segment_size: 584
    .language:       OpenCL C
    .language_version:
      - 2
      - 0
    .max_flat_workgroup_size: 256
    .name:           _ZN2at6native12_GLOBAL__N_143distribution_elementwise_grid_stride_kernelIfLi4EZNS0_9templates4cuda21uniform_and_transformIlfPNS_17CUDAGeneratorImplEZZZNS4_16geometric_kernelIS7_EEvRNS_18TensorIteratorBaseEdT_ENKUlvE_clEvENKUlvE2_clEvEUlfE_EEvSA_T1_T2_EUlP25hiprandStatePhilox4_32_10E0_ZNS1_27distribution_nullary_kernelIlf15HIP_vector_typeIfLj4EES7_SJ_SE_EEvSA_SG_RKT3_T4_EUlifE0_EEvlNS_15PhiloxCudaStateESF_SG_
    .private_segment_fixed_size: 0
    .sgpr_count:     75
    .sgpr_spill_count: 0
    .symbol:         _ZN2at6native12_GLOBAL__N_143distribution_elementwise_grid_stride_kernelIfLi4EZNS0_9templates4cuda21uniform_and_transformIlfPNS_17CUDAGeneratorImplEZZZNS4_16geometric_kernelIS7_EEvRNS_18TensorIteratorBaseEdT_ENKUlvE_clEvENKUlvE2_clEvEUlfE_EEvSA_T1_T2_EUlP25hiprandStatePhilox4_32_10E0_ZNS1_27distribution_nullary_kernelIlf15HIP_vector_typeIfLj4EES7_SJ_SE_EEvSA_SG_RKT3_T4_EUlifE0_EEvlNS_15PhiloxCudaStateESF_SG_.kd
    .uniform_work_group_size: 1
    .uses_dynamic_stack: false
    .vgpr_count:     45
    .vgpr_spill_count: 0
    .wavefront_size: 64
  - .agpr_count:     0
    .args:
      - .offset:         0
        .size:           8
        .value_kind:     by_value
      - .offset:         8
        .size:           32
        .value_kind:     by_value
      - .offset:         40
        .size:           1
        .value_kind:     by_value
      - .offset:         48
        .size:           24
        .value_kind:     by_value
      - .offset:         72
        .size:           4
        .value_kind:     hidden_block_count_x
      - .offset:         76
        .size:           4
        .value_kind:     hidden_block_count_y
      - .offset:         80
        .size:           4
        .value_kind:     hidden_block_count_z
      - .offset:         84
        .size:           2
        .value_kind:     hidden_group_size_x
      - .offset:         86
        .size:           2
        .value_kind:     hidden_group_size_y
      - .offset:         88
        .size:           2
        .value_kind:     hidden_group_size_z
      - .offset:         90
        .size:           2
        .value_kind:     hidden_remainder_x
      - .offset:         92
        .size:           2
        .value_kind:     hidden_remainder_y
      - .offset:         94
        .size:           2
        .value_kind:     hidden_remainder_z
      - .offset:         112
        .size:           8
        .value_kind:     hidden_global_offset_x
      - .offset:         120
        .size:           8
        .value_kind:     hidden_global_offset_y
      - .offset:         128
        .size:           8
        .value_kind:     hidden_global_offset_z
      - .offset:         136
        .size:           2
        .value_kind:     hidden_grid_dims
    .group_segment_fixed_size: 0
    .kernarg_segment_align: 8
    .kernarg_segment_size: 328
    .language:       OpenCL C
    .language_version:
      - 2
      - 0
    .max_flat_workgroup_size: 256
    .name:           _ZN2at6native12_GLOBAL__N_143distribution_elementwise_grid_stride_kernelIfLi4EZNS0_9templates4cuda21uniform_and_transformIsfPNS_17CUDAGeneratorImplEZZZNS4_16geometric_kernelIS7_EEvRNS_18TensorIteratorBaseEdT_ENKUlvE_clEvENKUlvE3_clEvEUlfE_EEvSA_T1_T2_EUlP25hiprandStatePhilox4_32_10E_ZNS1_27distribution_nullary_kernelIsf15HIP_vector_typeIdLj2EES7_SJ_SE_EEvSA_SG_RKT3_T4_EUlifE_EEvlNS_15PhiloxCudaStateESF_SG_
    .private_segment_fixed_size: 0
    .sgpr_count:     30
    .sgpr_spill_count: 0
    .symbol:         _ZN2at6native12_GLOBAL__N_143distribution_elementwise_grid_stride_kernelIfLi4EZNS0_9templates4cuda21uniform_and_transformIsfPNS_17CUDAGeneratorImplEZZZNS4_16geometric_kernelIS7_EEvRNS_18TensorIteratorBaseEdT_ENKUlvE_clEvENKUlvE3_clEvEUlfE_EEvSA_T1_T2_EUlP25hiprandStatePhilox4_32_10E_ZNS1_27distribution_nullary_kernelIsf15HIP_vector_typeIdLj2EES7_SJ_SE_EEvSA_SG_RKT3_T4_EUlifE_EEvlNS_15PhiloxCudaStateESF_SG_.kd
    .uniform_work_group_size: 1
    .uses_dynamic_stack: false
    .vgpr_count:     52
    .vgpr_spill_count: 0
    .wavefront_size: 64
  - .agpr_count:     0
    .args:
      - .offset:         0
        .size:           8
        .value_kind:     by_value
      - .offset:         8
        .size:           32
        .value_kind:     by_value
      - .offset:         40
        .size:           1
        .value_kind:     by_value
      - .offset:         48
        .size:           280
        .value_kind:     by_value
      - .offset:         328
        .size:           4
        .value_kind:     hidden_block_count_x
      - .offset:         332
        .size:           4
        .value_kind:     hidden_block_count_y
      - .offset:         336
        .size:           4
        .value_kind:     hidden_block_count_z
      - .offset:         340
        .size:           2
        .value_kind:     hidden_group_size_x
      - .offset:         342
        .size:           2
        .value_kind:     hidden_group_size_y
      - .offset:         344
        .size:           2
        .value_kind:     hidden_group_size_z
      - .offset:         346
        .size:           2
        .value_kind:     hidden_remainder_x
      - .offset:         348
        .size:           2
        .value_kind:     hidden_remainder_y
      - .offset:         350
        .size:           2
        .value_kind:     hidden_remainder_z
      - .offset:         368
        .size:           8
        .value_kind:     hidden_global_offset_x
      - .offset:         376
        .size:           8
        .value_kind:     hidden_global_offset_y
      - .offset:         384
        .size:           8
        .value_kind:     hidden_global_offset_z
      - .offset:         392
        .size:           2
        .value_kind:     hidden_grid_dims
    .group_segment_fixed_size: 0
    .kernarg_segment_align: 8
    .kernarg_segment_size: 584
    .language:       OpenCL C
    .language_version:
      - 2
      - 0
    .max_flat_workgroup_size: 256
    .name:           _ZN2at6native12_GLOBAL__N_143distribution_elementwise_grid_stride_kernelIfLi4EZNS0_9templates4cuda21uniform_and_transformIsfPNS_17CUDAGeneratorImplEZZZNS4_16geometric_kernelIS7_EEvRNS_18TensorIteratorBaseEdT_ENKUlvE_clEvENKUlvE3_clEvEUlfE_EEvSA_T1_T2_EUlP25hiprandStatePhilox4_32_10E_ZNS1_27distribution_nullary_kernelIsf15HIP_vector_typeIdLj2EES7_SJ_SE_EEvSA_SG_RKT3_T4_EUlifE0_EEvlNS_15PhiloxCudaStateESF_SG_
    .private_segment_fixed_size: 0
    .sgpr_count:     74
    .sgpr_spill_count: 0
    .symbol:         _ZN2at6native12_GLOBAL__N_143distribution_elementwise_grid_stride_kernelIfLi4EZNS0_9templates4cuda21uniform_and_transformIsfPNS_17CUDAGeneratorImplEZZZNS4_16geometric_kernelIS7_EEvRNS_18TensorIteratorBaseEdT_ENKUlvE_clEvENKUlvE3_clEvEUlfE_EEvSA_T1_T2_EUlP25hiprandStatePhilox4_32_10E_ZNS1_27distribution_nullary_kernelIsf15HIP_vector_typeIdLj2EES7_SJ_SE_EEvSA_SG_RKT3_T4_EUlifE0_EEvlNS_15PhiloxCudaStateESF_SG_.kd
    .uniform_work_group_size: 1
    .uses_dynamic_stack: false
    .vgpr_count:     46
    .vgpr_spill_count: 0
    .wavefront_size: 64
  - .agpr_count:     0
    .args:
      - .offset:         0
        .size:           8
        .value_kind:     by_value
      - .offset:         8
        .size:           32
        .value_kind:     by_value
      - .offset:         40
        .size:           1
        .value_kind:     by_value
      - .offset:         48
        .size:           24
        .value_kind:     by_value
      - .offset:         72
        .size:           4
        .value_kind:     hidden_block_count_x
      - .offset:         76
        .size:           4
        .value_kind:     hidden_block_count_y
      - .offset:         80
        .size:           4
        .value_kind:     hidden_block_count_z
      - .offset:         84
        .size:           2
        .value_kind:     hidden_group_size_x
      - .offset:         86
        .size:           2
        .value_kind:     hidden_group_size_y
      - .offset:         88
        .size:           2
        .value_kind:     hidden_group_size_z
      - .offset:         90
        .size:           2
        .value_kind:     hidden_remainder_x
      - .offset:         92
        .size:           2
        .value_kind:     hidden_remainder_y
      - .offset:         94
        .size:           2
        .value_kind:     hidden_remainder_z
      - .offset:         112
        .size:           8
        .value_kind:     hidden_global_offset_x
      - .offset:         120
        .size:           8
        .value_kind:     hidden_global_offset_y
      - .offset:         128
        .size:           8
        .value_kind:     hidden_global_offset_z
      - .offset:         136
        .size:           2
        .value_kind:     hidden_grid_dims
    .group_segment_fixed_size: 0
    .kernarg_segment_align: 8
    .kernarg_segment_size: 328
    .language:       OpenCL C
    .language_version:
      - 2
      - 0
    .max_flat_workgroup_size: 256
    .name:           _ZN2at6native12_GLOBAL__N_143distribution_elementwise_grid_stride_kernelIfLi4EZNS0_9templates4cuda21uniform_and_transformIsfPNS_17CUDAGeneratorImplEZZZNS4_16geometric_kernelIS7_EEvRNS_18TensorIteratorBaseEdT_ENKUlvE_clEvENKUlvE3_clEvEUlfE_EEvSA_T1_T2_EUlP25hiprandStatePhilox4_32_10E0_ZNS1_27distribution_nullary_kernelIsf15HIP_vector_typeIfLj4EES7_SJ_SE_EEvSA_SG_RKT3_T4_EUlifE_EEvlNS_15PhiloxCudaStateESF_SG_
    .private_segment_fixed_size: 0
    .sgpr_count:     30
    .sgpr_spill_count: 0
    .symbol:         _ZN2at6native12_GLOBAL__N_143distribution_elementwise_grid_stride_kernelIfLi4EZNS0_9templates4cuda21uniform_and_transformIsfPNS_17CUDAGeneratorImplEZZZNS4_16geometric_kernelIS7_EEvRNS_18TensorIteratorBaseEdT_ENKUlvE_clEvENKUlvE3_clEvEUlfE_EEvSA_T1_T2_EUlP25hiprandStatePhilox4_32_10E0_ZNS1_27distribution_nullary_kernelIsf15HIP_vector_typeIfLj4EES7_SJ_SE_EEvSA_SG_RKT3_T4_EUlifE_EEvlNS_15PhiloxCudaStateESF_SG_.kd
    .uniform_work_group_size: 1
    .uses_dynamic_stack: false
    .vgpr_count:     50
    .vgpr_spill_count: 0
    .wavefront_size: 64
  - .agpr_count:     0
    .args:
      - .offset:         0
        .size:           8
        .value_kind:     by_value
      - .offset:         8
        .size:           32
        .value_kind:     by_value
      - .offset:         40
        .size:           1
        .value_kind:     by_value
      - .offset:         48
        .size:           280
        .value_kind:     by_value
      - .offset:         328
        .size:           4
        .value_kind:     hidden_block_count_x
      - .offset:         332
        .size:           4
        .value_kind:     hidden_block_count_y
      - .offset:         336
        .size:           4
        .value_kind:     hidden_block_count_z
      - .offset:         340
        .size:           2
        .value_kind:     hidden_group_size_x
      - .offset:         342
        .size:           2
        .value_kind:     hidden_group_size_y
      - .offset:         344
        .size:           2
        .value_kind:     hidden_group_size_z
      - .offset:         346
        .size:           2
        .value_kind:     hidden_remainder_x
      - .offset:         348
        .size:           2
        .value_kind:     hidden_remainder_y
      - .offset:         350
        .size:           2
        .value_kind:     hidden_remainder_z
      - .offset:         368
        .size:           8
        .value_kind:     hidden_global_offset_x
      - .offset:         376
        .size:           8
        .value_kind:     hidden_global_offset_y
      - .offset:         384
        .size:           8
        .value_kind:     hidden_global_offset_z
      - .offset:         392
        .size:           2
        .value_kind:     hidden_grid_dims
    .group_segment_fixed_size: 0
    .kernarg_segment_align: 8
    .kernarg_segment_size: 584
    .language:       OpenCL C
    .language_version:
      - 2
      - 0
    .max_flat_workgroup_size: 256
    .name:           _ZN2at6native12_GLOBAL__N_143distribution_elementwise_grid_stride_kernelIfLi4EZNS0_9templates4cuda21uniform_and_transformIsfPNS_17CUDAGeneratorImplEZZZNS4_16geometric_kernelIS7_EEvRNS_18TensorIteratorBaseEdT_ENKUlvE_clEvENKUlvE3_clEvEUlfE_EEvSA_T1_T2_EUlP25hiprandStatePhilox4_32_10E0_ZNS1_27distribution_nullary_kernelIsf15HIP_vector_typeIfLj4EES7_SJ_SE_EEvSA_SG_RKT3_T4_EUlifE0_EEvlNS_15PhiloxCudaStateESF_SG_
    .private_segment_fixed_size: 0
    .sgpr_count:     74
    .sgpr_spill_count: 0
    .symbol:         _ZN2at6native12_GLOBAL__N_143distribution_elementwise_grid_stride_kernelIfLi4EZNS0_9templates4cuda21uniform_and_transformIsfPNS_17CUDAGeneratorImplEZZZNS4_16geometric_kernelIS7_EEvRNS_18TensorIteratorBaseEdT_ENKUlvE_clEvENKUlvE3_clEvEUlfE_EEvSA_T1_T2_EUlP25hiprandStatePhilox4_32_10E0_ZNS1_27distribution_nullary_kernelIsf15HIP_vector_typeIfLj4EES7_SJ_SE_EEvSA_SG_RKT3_T4_EUlifE0_EEvlNS_15PhiloxCudaStateESF_SG_.kd
    .uniform_work_group_size: 1
    .uses_dynamic_stack: false
    .vgpr_count:     44
    .vgpr_spill_count: 0
    .wavefront_size: 64
  - .agpr_count:     0
    .args:
      - .offset:         0
        .size:           8
        .value_kind:     by_value
      - .offset:         8
        .size:           32
        .value_kind:     by_value
      - .offset:         40
        .size:           1
        .value_kind:     by_value
      - .offset:         48
        .size:           24
        .value_kind:     by_value
      - .offset:         72
        .size:           4
        .value_kind:     hidden_block_count_x
      - .offset:         76
        .size:           4
        .value_kind:     hidden_block_count_y
      - .offset:         80
        .size:           4
        .value_kind:     hidden_block_count_z
      - .offset:         84
        .size:           2
        .value_kind:     hidden_group_size_x
      - .offset:         86
        .size:           2
        .value_kind:     hidden_group_size_y
      - .offset:         88
        .size:           2
        .value_kind:     hidden_group_size_z
      - .offset:         90
        .size:           2
        .value_kind:     hidden_remainder_x
      - .offset:         92
        .size:           2
        .value_kind:     hidden_remainder_y
      - .offset:         94
        .size:           2
        .value_kind:     hidden_remainder_z
      - .offset:         112
        .size:           8
        .value_kind:     hidden_global_offset_x
      - .offset:         120
        .size:           8
        .value_kind:     hidden_global_offset_y
      - .offset:         128
        .size:           8
        .value_kind:     hidden_global_offset_z
      - .offset:         136
        .size:           2
        .value_kind:     hidden_grid_dims
    .group_segment_fixed_size: 0
    .kernarg_segment_align: 8
    .kernarg_segment_size: 328
    .language:       OpenCL C
    .language_version:
      - 2
      - 0
    .max_flat_workgroup_size: 256
    .name:           _ZN2at6native12_GLOBAL__N_143distribution_elementwise_grid_stride_kernelIdLi2EZNS0_9templates4cuda21uniform_and_transformIddPNS_17CUDAGeneratorImplEZZZNS4_16geometric_kernelIS7_EEvRNS_18TensorIteratorBaseEdT_ENKUlvE_clEvENKUlvE4_clEvEUldE_EEvSA_T1_T2_EUlP25hiprandStatePhilox4_32_10E_ZNS1_27distribution_nullary_kernelIdd15HIP_vector_typeIdLj2EES7_SJ_SE_EEvSA_SG_RKT3_T4_EUlidE_EEvlNS_15PhiloxCudaStateESF_SG_
    .private_segment_fixed_size: 0
    .sgpr_count:     33
    .sgpr_spill_count: 0
    .symbol:         _ZN2at6native12_GLOBAL__N_143distribution_elementwise_grid_stride_kernelIdLi2EZNS0_9templates4cuda21uniform_and_transformIddPNS_17CUDAGeneratorImplEZZZNS4_16geometric_kernelIS7_EEvRNS_18TensorIteratorBaseEdT_ENKUlvE_clEvENKUlvE4_clEvEUldE_EEvSA_T1_T2_EUlP25hiprandStatePhilox4_32_10E_ZNS1_27distribution_nullary_kernelIdd15HIP_vector_typeIdLj2EES7_SJ_SE_EEvSA_SG_RKT3_T4_EUlidE_EEvlNS_15PhiloxCudaStateESF_SG_.kd
    .uniform_work_group_size: 1
    .uses_dynamic_stack: false
    .vgpr_count:     72
    .vgpr_spill_count: 0
    .wavefront_size: 64
  - .agpr_count:     0
    .args:
      - .offset:         0
        .size:           8
        .value_kind:     by_value
      - .offset:         8
        .size:           32
        .value_kind:     by_value
      - .offset:         40
        .size:           1
        .value_kind:     by_value
      - .offset:         48
        .size:           280
        .value_kind:     by_value
      - .offset:         328
        .size:           4
        .value_kind:     hidden_block_count_x
      - .offset:         332
        .size:           4
        .value_kind:     hidden_block_count_y
      - .offset:         336
        .size:           4
        .value_kind:     hidden_block_count_z
      - .offset:         340
        .size:           2
        .value_kind:     hidden_group_size_x
      - .offset:         342
        .size:           2
        .value_kind:     hidden_group_size_y
      - .offset:         344
        .size:           2
        .value_kind:     hidden_group_size_z
      - .offset:         346
        .size:           2
        .value_kind:     hidden_remainder_x
      - .offset:         348
        .size:           2
        .value_kind:     hidden_remainder_y
      - .offset:         350
        .size:           2
        .value_kind:     hidden_remainder_z
      - .offset:         368
        .size:           8
        .value_kind:     hidden_global_offset_x
      - .offset:         376
        .size:           8
        .value_kind:     hidden_global_offset_y
      - .offset:         384
        .size:           8
        .value_kind:     hidden_global_offset_z
      - .offset:         392
        .size:           2
        .value_kind:     hidden_grid_dims
    .group_segment_fixed_size: 0
    .kernarg_segment_align: 8
    .kernarg_segment_size: 584
    .language:       OpenCL C
    .language_version:
      - 2
      - 0
    .max_flat_workgroup_size: 256
    .name:           _ZN2at6native12_GLOBAL__N_143distribution_elementwise_grid_stride_kernelIdLi2EZNS0_9templates4cuda21uniform_and_transformIddPNS_17CUDAGeneratorImplEZZZNS4_16geometric_kernelIS7_EEvRNS_18TensorIteratorBaseEdT_ENKUlvE_clEvENKUlvE4_clEvEUldE_EEvSA_T1_T2_EUlP25hiprandStatePhilox4_32_10E_ZNS1_27distribution_nullary_kernelIdd15HIP_vector_typeIdLj2EES7_SJ_SE_EEvSA_SG_RKT3_T4_EUlidE0_EEvlNS_15PhiloxCudaStateESF_SG_
    .private_segment_fixed_size: 0
    .sgpr_count:     77
    .sgpr_spill_count: 0
    .symbol:         _ZN2at6native12_GLOBAL__N_143distribution_elementwise_grid_stride_kernelIdLi2EZNS0_9templates4cuda21uniform_and_transformIddPNS_17CUDAGeneratorImplEZZZNS4_16geometric_kernelIS7_EEvRNS_18TensorIteratorBaseEdT_ENKUlvE_clEvENKUlvE4_clEvEUldE_EEvSA_T1_T2_EUlP25hiprandStatePhilox4_32_10E_ZNS1_27distribution_nullary_kernelIdd15HIP_vector_typeIdLj2EES7_SJ_SE_EEvSA_SG_RKT3_T4_EUlidE0_EEvlNS_15PhiloxCudaStateESF_SG_.kd
    .uniform_work_group_size: 1
    .uses_dynamic_stack: false
    .vgpr_count:     72
    .vgpr_spill_count: 0
    .wavefront_size: 64
  - .agpr_count:     0
    .args:
      - .offset:         0
        .size:           8
        .value_kind:     by_value
      - .offset:         8
        .size:           32
        .value_kind:     by_value
      - .offset:         40
        .size:           1
        .value_kind:     by_value
      - .offset:         48
        .size:           24
        .value_kind:     by_value
      - .offset:         72
        .size:           4
        .value_kind:     hidden_block_count_x
      - .offset:         76
        .size:           4
        .value_kind:     hidden_block_count_y
      - .offset:         80
        .size:           4
        .value_kind:     hidden_block_count_z
      - .offset:         84
        .size:           2
        .value_kind:     hidden_group_size_x
      - .offset:         86
        .size:           2
        .value_kind:     hidden_group_size_y
      - .offset:         88
        .size:           2
        .value_kind:     hidden_group_size_z
      - .offset:         90
        .size:           2
        .value_kind:     hidden_remainder_x
      - .offset:         92
        .size:           2
        .value_kind:     hidden_remainder_y
      - .offset:         94
        .size:           2
        .value_kind:     hidden_remainder_z
      - .offset:         112
        .size:           8
        .value_kind:     hidden_global_offset_x
      - .offset:         120
        .size:           8
        .value_kind:     hidden_global_offset_y
      - .offset:         128
        .size:           8
        .value_kind:     hidden_global_offset_z
      - .offset:         136
        .size:           2
        .value_kind:     hidden_grid_dims
    .group_segment_fixed_size: 0
    .kernarg_segment_align: 8
    .kernarg_segment_size: 328
    .language:       OpenCL C
    .language_version:
      - 2
      - 0
    .max_flat_workgroup_size: 256
    .name:           _ZN2at6native12_GLOBAL__N_143distribution_elementwise_grid_stride_kernelIdLi2EZNS0_9templates4cuda21uniform_and_transformIddPNS_17CUDAGeneratorImplEZZZNS4_16geometric_kernelIS7_EEvRNS_18TensorIteratorBaseEdT_ENKUlvE_clEvENKUlvE4_clEvEUldE_EEvSA_T1_T2_EUlP25hiprandStatePhilox4_32_10E0_ZNS1_27distribution_nullary_kernelIdd15HIP_vector_typeIfLj4EES7_SJ_SE_EEvSA_SG_RKT3_T4_EUlidE_EEvlNS_15PhiloxCudaStateESF_SG_
    .private_segment_fixed_size: 0
    .sgpr_count:     32
    .sgpr_spill_count: 0
    .symbol:         _ZN2at6native12_GLOBAL__N_143distribution_elementwise_grid_stride_kernelIdLi2EZNS0_9templates4cuda21uniform_and_transformIddPNS_17CUDAGeneratorImplEZZZNS4_16geometric_kernelIS7_EEvRNS_18TensorIteratorBaseEdT_ENKUlvE_clEvENKUlvE4_clEvEUldE_EEvSA_T1_T2_EUlP25hiprandStatePhilox4_32_10E0_ZNS1_27distribution_nullary_kernelIdd15HIP_vector_typeIfLj4EES7_SJ_SE_EEvSA_SG_RKT3_T4_EUlidE_EEvlNS_15PhiloxCudaStateESF_SG_.kd
    .uniform_work_group_size: 1
    .uses_dynamic_stack: false
    .vgpr_count:     72
    .vgpr_spill_count: 0
    .wavefront_size: 64
  - .agpr_count:     0
    .args:
      - .offset:         0
        .size:           8
        .value_kind:     by_value
      - .offset:         8
        .size:           32
        .value_kind:     by_value
      - .offset:         40
        .size:           1
        .value_kind:     by_value
      - .offset:         48
        .size:           280
        .value_kind:     by_value
      - .offset:         328
        .size:           4
        .value_kind:     hidden_block_count_x
      - .offset:         332
        .size:           4
        .value_kind:     hidden_block_count_y
      - .offset:         336
        .size:           4
        .value_kind:     hidden_block_count_z
      - .offset:         340
        .size:           2
        .value_kind:     hidden_group_size_x
      - .offset:         342
        .size:           2
        .value_kind:     hidden_group_size_y
      - .offset:         344
        .size:           2
        .value_kind:     hidden_group_size_z
      - .offset:         346
        .size:           2
        .value_kind:     hidden_remainder_x
      - .offset:         348
        .size:           2
        .value_kind:     hidden_remainder_y
      - .offset:         350
        .size:           2
        .value_kind:     hidden_remainder_z
      - .offset:         368
        .size:           8
        .value_kind:     hidden_global_offset_x
      - .offset:         376
        .size:           8
        .value_kind:     hidden_global_offset_y
      - .offset:         384
        .size:           8
        .value_kind:     hidden_global_offset_z
      - .offset:         392
        .size:           2
        .value_kind:     hidden_grid_dims
    .group_segment_fixed_size: 0
    .kernarg_segment_align: 8
    .kernarg_segment_size: 584
    .language:       OpenCL C
    .language_version:
      - 2
      - 0
    .max_flat_workgroup_size: 256
    .name:           _ZN2at6native12_GLOBAL__N_143distribution_elementwise_grid_stride_kernelIdLi2EZNS0_9templates4cuda21uniform_and_transformIddPNS_17CUDAGeneratorImplEZZZNS4_16geometric_kernelIS7_EEvRNS_18TensorIteratorBaseEdT_ENKUlvE_clEvENKUlvE4_clEvEUldE_EEvSA_T1_T2_EUlP25hiprandStatePhilox4_32_10E0_ZNS1_27distribution_nullary_kernelIdd15HIP_vector_typeIfLj4EES7_SJ_SE_EEvSA_SG_RKT3_T4_EUlidE0_EEvlNS_15PhiloxCudaStateESF_SG_
    .private_segment_fixed_size: 0
    .sgpr_count:     76
    .sgpr_spill_count: 0
    .symbol:         _ZN2at6native12_GLOBAL__N_143distribution_elementwise_grid_stride_kernelIdLi2EZNS0_9templates4cuda21uniform_and_transformIddPNS_17CUDAGeneratorImplEZZZNS4_16geometric_kernelIS7_EEvRNS_18TensorIteratorBaseEdT_ENKUlvE_clEvENKUlvE4_clEvEUldE_EEvSA_T1_T2_EUlP25hiprandStatePhilox4_32_10E0_ZNS1_27distribution_nullary_kernelIdd15HIP_vector_typeIfLj4EES7_SJ_SE_EEvSA_SG_RKT3_T4_EUlidE0_EEvlNS_15PhiloxCudaStateESF_SG_.kd
    .uniform_work_group_size: 1
    .uses_dynamic_stack: false
    .vgpr_count:     72
    .vgpr_spill_count: 0
    .wavefront_size: 64
  - .agpr_count:     0
    .args:
      - .offset:         0
        .size:           8
        .value_kind:     by_value
      - .offset:         8
        .size:           32
        .value_kind:     by_value
      - .offset:         40
        .size:           1
        .value_kind:     by_value
      - .offset:         48
        .size:           24
        .value_kind:     by_value
      - .offset:         72
        .size:           4
        .value_kind:     hidden_block_count_x
      - .offset:         76
        .size:           4
        .value_kind:     hidden_block_count_y
      - .offset:         80
        .size:           4
        .value_kind:     hidden_block_count_z
      - .offset:         84
        .size:           2
        .value_kind:     hidden_group_size_x
      - .offset:         86
        .size:           2
        .value_kind:     hidden_group_size_y
      - .offset:         88
        .size:           2
        .value_kind:     hidden_group_size_z
      - .offset:         90
        .size:           2
        .value_kind:     hidden_remainder_x
      - .offset:         92
        .size:           2
        .value_kind:     hidden_remainder_y
      - .offset:         94
        .size:           2
        .value_kind:     hidden_remainder_z
      - .offset:         112
        .size:           8
        .value_kind:     hidden_global_offset_x
      - .offset:         120
        .size:           8
        .value_kind:     hidden_global_offset_y
      - .offset:         128
        .size:           8
        .value_kind:     hidden_global_offset_z
      - .offset:         136
        .size:           2
        .value_kind:     hidden_grid_dims
    .group_segment_fixed_size: 0
    .kernarg_segment_align: 8
    .kernarg_segment_size: 328
    .language:       OpenCL C
    .language_version:
      - 2
      - 0
    .max_flat_workgroup_size: 256
    .name:           _ZN2at6native12_GLOBAL__N_143distribution_elementwise_grid_stride_kernelIfLi4EZNS0_9templates4cuda21uniform_and_transformIffPNS_17CUDAGeneratorImplEZZZNS4_16geometric_kernelIS7_EEvRNS_18TensorIteratorBaseEdT_ENKUlvE_clEvENKUlvE5_clEvEUlfE_EEvSA_T1_T2_EUlP25hiprandStatePhilox4_32_10E_ZNS1_27distribution_nullary_kernelIff15HIP_vector_typeIdLj2EES7_SJ_SE_EEvSA_SG_RKT3_T4_EUlifE_EEvlNS_15PhiloxCudaStateESF_SG_
    .private_segment_fixed_size: 0
    .sgpr_count:     30
    .sgpr_spill_count: 0
    .symbol:         _ZN2at6native12_GLOBAL__N_143distribution_elementwise_grid_stride_kernelIfLi4EZNS0_9templates4cuda21uniform_and_transformIffPNS_17CUDAGeneratorImplEZZZNS4_16geometric_kernelIS7_EEvRNS_18TensorIteratorBaseEdT_ENKUlvE_clEvENKUlvE5_clEvEUlfE_EEvSA_T1_T2_EUlP25hiprandStatePhilox4_32_10E_ZNS1_27distribution_nullary_kernelIff15HIP_vector_typeIdLj2EES7_SJ_SE_EEvSA_SG_RKT3_T4_EUlifE_EEvlNS_15PhiloxCudaStateESF_SG_.kd
    .uniform_work_group_size: 1
    .uses_dynamic_stack: false
    .vgpr_count:     52
    .vgpr_spill_count: 0
    .wavefront_size: 64
  - .agpr_count:     0
    .args:
      - .offset:         0
        .size:           8
        .value_kind:     by_value
      - .offset:         8
        .size:           32
        .value_kind:     by_value
      - .offset:         40
        .size:           1
        .value_kind:     by_value
      - .offset:         48
        .size:           280
        .value_kind:     by_value
      - .offset:         328
        .size:           4
        .value_kind:     hidden_block_count_x
      - .offset:         332
        .size:           4
        .value_kind:     hidden_block_count_y
      - .offset:         336
        .size:           4
        .value_kind:     hidden_block_count_z
      - .offset:         340
        .size:           2
        .value_kind:     hidden_group_size_x
      - .offset:         342
        .size:           2
        .value_kind:     hidden_group_size_y
      - .offset:         344
        .size:           2
        .value_kind:     hidden_group_size_z
      - .offset:         346
        .size:           2
        .value_kind:     hidden_remainder_x
      - .offset:         348
        .size:           2
        .value_kind:     hidden_remainder_y
      - .offset:         350
        .size:           2
        .value_kind:     hidden_remainder_z
      - .offset:         368
        .size:           8
        .value_kind:     hidden_global_offset_x
      - .offset:         376
        .size:           8
        .value_kind:     hidden_global_offset_y
      - .offset:         384
        .size:           8
        .value_kind:     hidden_global_offset_z
      - .offset:         392
        .size:           2
        .value_kind:     hidden_grid_dims
    .group_segment_fixed_size: 0
    .kernarg_segment_align: 8
    .kernarg_segment_size: 584
    .language:       OpenCL C
    .language_version:
      - 2
      - 0
    .max_flat_workgroup_size: 256
    .name:           _ZN2at6native12_GLOBAL__N_143distribution_elementwise_grid_stride_kernelIfLi4EZNS0_9templates4cuda21uniform_and_transformIffPNS_17CUDAGeneratorImplEZZZNS4_16geometric_kernelIS7_EEvRNS_18TensorIteratorBaseEdT_ENKUlvE_clEvENKUlvE5_clEvEUlfE_EEvSA_T1_T2_EUlP25hiprandStatePhilox4_32_10E_ZNS1_27distribution_nullary_kernelIff15HIP_vector_typeIdLj2EES7_SJ_SE_EEvSA_SG_RKT3_T4_EUlifE0_EEvlNS_15PhiloxCudaStateESF_SG_
    .private_segment_fixed_size: 0
    .sgpr_count:     74
    .sgpr_spill_count: 0
    .symbol:         _ZN2at6native12_GLOBAL__N_143distribution_elementwise_grid_stride_kernelIfLi4EZNS0_9templates4cuda21uniform_and_transformIffPNS_17CUDAGeneratorImplEZZZNS4_16geometric_kernelIS7_EEvRNS_18TensorIteratorBaseEdT_ENKUlvE_clEvENKUlvE5_clEvEUlfE_EEvSA_T1_T2_EUlP25hiprandStatePhilox4_32_10E_ZNS1_27distribution_nullary_kernelIff15HIP_vector_typeIdLj2EES7_SJ_SE_EEvSA_SG_RKT3_T4_EUlifE0_EEvlNS_15PhiloxCudaStateESF_SG_.kd
    .uniform_work_group_size: 1
    .uses_dynamic_stack: false
    .vgpr_count:     46
    .vgpr_spill_count: 0
    .wavefront_size: 64
  - .agpr_count:     0
    .args:
      - .offset:         0
        .size:           8
        .value_kind:     by_value
      - .offset:         8
        .size:           32
        .value_kind:     by_value
      - .offset:         40
        .size:           1
        .value_kind:     by_value
      - .offset:         48
        .size:           24
        .value_kind:     by_value
      - .offset:         72
        .size:           4
        .value_kind:     hidden_block_count_x
      - .offset:         76
        .size:           4
        .value_kind:     hidden_block_count_y
      - .offset:         80
        .size:           4
        .value_kind:     hidden_block_count_z
      - .offset:         84
        .size:           2
        .value_kind:     hidden_group_size_x
      - .offset:         86
        .size:           2
        .value_kind:     hidden_group_size_y
      - .offset:         88
        .size:           2
        .value_kind:     hidden_group_size_z
      - .offset:         90
        .size:           2
        .value_kind:     hidden_remainder_x
      - .offset:         92
        .size:           2
        .value_kind:     hidden_remainder_y
      - .offset:         94
        .size:           2
        .value_kind:     hidden_remainder_z
      - .offset:         112
        .size:           8
        .value_kind:     hidden_global_offset_x
      - .offset:         120
        .size:           8
        .value_kind:     hidden_global_offset_y
      - .offset:         128
        .size:           8
        .value_kind:     hidden_global_offset_z
      - .offset:         136
        .size:           2
        .value_kind:     hidden_grid_dims
    .group_segment_fixed_size: 0
    .kernarg_segment_align: 8
    .kernarg_segment_size: 328
    .language:       OpenCL C
    .language_version:
      - 2
      - 0
    .max_flat_workgroup_size: 256
    .name:           _ZN2at6native12_GLOBAL__N_143distribution_elementwise_grid_stride_kernelIfLi4EZNS0_9templates4cuda21uniform_and_transformIffPNS_17CUDAGeneratorImplEZZZNS4_16geometric_kernelIS7_EEvRNS_18TensorIteratorBaseEdT_ENKUlvE_clEvENKUlvE5_clEvEUlfE_EEvSA_T1_T2_EUlP25hiprandStatePhilox4_32_10E0_ZNS1_27distribution_nullary_kernelIff15HIP_vector_typeIfLj4EES7_SJ_SE_EEvSA_SG_RKT3_T4_EUlifE_EEvlNS_15PhiloxCudaStateESF_SG_
    .private_segment_fixed_size: 0
    .sgpr_count:     30
    .sgpr_spill_count: 0
    .symbol:         _ZN2at6native12_GLOBAL__N_143distribution_elementwise_grid_stride_kernelIfLi4EZNS0_9templates4cuda21uniform_and_transformIffPNS_17CUDAGeneratorImplEZZZNS4_16geometric_kernelIS7_EEvRNS_18TensorIteratorBaseEdT_ENKUlvE_clEvENKUlvE5_clEvEUlfE_EEvSA_T1_T2_EUlP25hiprandStatePhilox4_32_10E0_ZNS1_27distribution_nullary_kernelIff15HIP_vector_typeIfLj4EES7_SJ_SE_EEvSA_SG_RKT3_T4_EUlifE_EEvlNS_15PhiloxCudaStateESF_SG_.kd
    .uniform_work_group_size: 1
    .uses_dynamic_stack: false
    .vgpr_count:     50
    .vgpr_spill_count: 0
    .wavefront_size: 64
  - .agpr_count:     0
    .args:
      - .offset:         0
        .size:           8
        .value_kind:     by_value
      - .offset:         8
        .size:           32
        .value_kind:     by_value
      - .offset:         40
        .size:           1
        .value_kind:     by_value
      - .offset:         48
        .size:           280
        .value_kind:     by_value
      - .offset:         328
        .size:           4
        .value_kind:     hidden_block_count_x
      - .offset:         332
        .size:           4
        .value_kind:     hidden_block_count_y
      - .offset:         336
        .size:           4
        .value_kind:     hidden_block_count_z
      - .offset:         340
        .size:           2
        .value_kind:     hidden_group_size_x
      - .offset:         342
        .size:           2
        .value_kind:     hidden_group_size_y
      - .offset:         344
        .size:           2
        .value_kind:     hidden_group_size_z
      - .offset:         346
        .size:           2
        .value_kind:     hidden_remainder_x
      - .offset:         348
        .size:           2
        .value_kind:     hidden_remainder_y
      - .offset:         350
        .size:           2
        .value_kind:     hidden_remainder_z
      - .offset:         368
        .size:           8
        .value_kind:     hidden_global_offset_x
      - .offset:         376
        .size:           8
        .value_kind:     hidden_global_offset_y
      - .offset:         384
        .size:           8
        .value_kind:     hidden_global_offset_z
      - .offset:         392
        .size:           2
        .value_kind:     hidden_grid_dims
    .group_segment_fixed_size: 0
    .kernarg_segment_align: 8
    .kernarg_segment_size: 584
    .language:       OpenCL C
    .language_version:
      - 2
      - 0
    .max_flat_workgroup_size: 256
    .name:           _ZN2at6native12_GLOBAL__N_143distribution_elementwise_grid_stride_kernelIfLi4EZNS0_9templates4cuda21uniform_and_transformIffPNS_17CUDAGeneratorImplEZZZNS4_16geometric_kernelIS7_EEvRNS_18TensorIteratorBaseEdT_ENKUlvE_clEvENKUlvE5_clEvEUlfE_EEvSA_T1_T2_EUlP25hiprandStatePhilox4_32_10E0_ZNS1_27distribution_nullary_kernelIff15HIP_vector_typeIfLj4EES7_SJ_SE_EEvSA_SG_RKT3_T4_EUlifE0_EEvlNS_15PhiloxCudaStateESF_SG_
    .private_segment_fixed_size: 0
    .sgpr_count:     74
    .sgpr_spill_count: 0
    .symbol:         _ZN2at6native12_GLOBAL__N_143distribution_elementwise_grid_stride_kernelIfLi4EZNS0_9templates4cuda21uniform_and_transformIffPNS_17CUDAGeneratorImplEZZZNS4_16geometric_kernelIS7_EEvRNS_18TensorIteratorBaseEdT_ENKUlvE_clEvENKUlvE5_clEvEUlfE_EEvSA_T1_T2_EUlP25hiprandStatePhilox4_32_10E0_ZNS1_27distribution_nullary_kernelIff15HIP_vector_typeIfLj4EES7_SJ_SE_EEvSA_SG_RKT3_T4_EUlifE0_EEvlNS_15PhiloxCudaStateESF_SG_.kd
    .uniform_work_group_size: 1
    .uses_dynamic_stack: false
    .vgpr_count:     44
    .vgpr_spill_count: 0
    .wavefront_size: 64
  - .agpr_count:     0
    .args:
      - .offset:         0
        .size:           8
        .value_kind:     by_value
      - .offset:         8
        .size:           32
        .value_kind:     by_value
      - .offset:         40
        .size:           1
        .value_kind:     by_value
      - .offset:         48
        .size:           24
        .value_kind:     by_value
      - .offset:         72
        .size:           4
        .value_kind:     hidden_block_count_x
      - .offset:         76
        .size:           4
        .value_kind:     hidden_block_count_y
      - .offset:         80
        .size:           4
        .value_kind:     hidden_block_count_z
      - .offset:         84
        .size:           2
        .value_kind:     hidden_group_size_x
      - .offset:         86
        .size:           2
        .value_kind:     hidden_group_size_y
      - .offset:         88
        .size:           2
        .value_kind:     hidden_group_size_z
      - .offset:         90
        .size:           2
        .value_kind:     hidden_remainder_x
      - .offset:         92
        .size:           2
        .value_kind:     hidden_remainder_y
      - .offset:         94
        .size:           2
        .value_kind:     hidden_remainder_z
      - .offset:         112
        .size:           8
        .value_kind:     hidden_global_offset_x
      - .offset:         120
        .size:           8
        .value_kind:     hidden_global_offset_y
      - .offset:         128
        .size:           8
        .value_kind:     hidden_global_offset_z
      - .offset:         136
        .size:           2
        .value_kind:     hidden_grid_dims
    .group_segment_fixed_size: 0
    .kernarg_segment_align: 8
    .kernarg_segment_size: 328
    .language:       OpenCL C
    .language_version:
      - 2
      - 0
    .max_flat_workgroup_size: 256
    .name:           _ZN2at6native12_GLOBAL__N_143distribution_elementwise_grid_stride_kernelIfLi4EZNS0_9templates4cuda21uniform_and_transformIN3c104HalfEfPNS_17CUDAGeneratorImplEZZZNS4_16geometric_kernelIS9_EEvRNS_18TensorIteratorBaseEdT_ENKUlvE_clEvENKUlvE6_clEvEUlfE_EEvSC_T1_T2_EUlP25hiprandStatePhilox4_32_10E_ZNS1_27distribution_nullary_kernelIS7_f15HIP_vector_typeIdLj2EES9_SL_SG_EEvSC_SI_RKT3_T4_EUlifE_EEvlNS_15PhiloxCudaStateESH_SI_
    .private_segment_fixed_size: 0
    .sgpr_count:     30
    .sgpr_spill_count: 0
    .symbol:         _ZN2at6native12_GLOBAL__N_143distribution_elementwise_grid_stride_kernelIfLi4EZNS0_9templates4cuda21uniform_and_transformIN3c104HalfEfPNS_17CUDAGeneratorImplEZZZNS4_16geometric_kernelIS9_EEvRNS_18TensorIteratorBaseEdT_ENKUlvE_clEvENKUlvE6_clEvEUlfE_EEvSC_T1_T2_EUlP25hiprandStatePhilox4_32_10E_ZNS1_27distribution_nullary_kernelIS7_f15HIP_vector_typeIdLj2EES9_SL_SG_EEvSC_SI_RKT3_T4_EUlifE_EEvlNS_15PhiloxCudaStateESH_SI_.kd
    .uniform_work_group_size: 1
    .uses_dynamic_stack: false
    .vgpr_count:     52
    .vgpr_spill_count: 0
    .wavefront_size: 64
  - .agpr_count:     0
    .args:
      - .offset:         0
        .size:           8
        .value_kind:     by_value
      - .offset:         8
        .size:           32
        .value_kind:     by_value
      - .offset:         40
        .size:           1
        .value_kind:     by_value
      - .offset:         48
        .size:           280
        .value_kind:     by_value
      - .offset:         328
        .size:           4
        .value_kind:     hidden_block_count_x
      - .offset:         332
        .size:           4
        .value_kind:     hidden_block_count_y
      - .offset:         336
        .size:           4
        .value_kind:     hidden_block_count_z
      - .offset:         340
        .size:           2
        .value_kind:     hidden_group_size_x
      - .offset:         342
        .size:           2
        .value_kind:     hidden_group_size_y
      - .offset:         344
        .size:           2
        .value_kind:     hidden_group_size_z
      - .offset:         346
        .size:           2
        .value_kind:     hidden_remainder_x
      - .offset:         348
        .size:           2
        .value_kind:     hidden_remainder_y
      - .offset:         350
        .size:           2
        .value_kind:     hidden_remainder_z
      - .offset:         368
        .size:           8
        .value_kind:     hidden_global_offset_x
      - .offset:         376
        .size:           8
        .value_kind:     hidden_global_offset_y
      - .offset:         384
        .size:           8
        .value_kind:     hidden_global_offset_z
      - .offset:         392
        .size:           2
        .value_kind:     hidden_grid_dims
    .group_segment_fixed_size: 0
    .kernarg_segment_align: 8
    .kernarg_segment_size: 584
    .language:       OpenCL C
    .language_version:
      - 2
      - 0
    .max_flat_workgroup_size: 256
    .name:           _ZN2at6native12_GLOBAL__N_143distribution_elementwise_grid_stride_kernelIfLi4EZNS0_9templates4cuda21uniform_and_transformIN3c104HalfEfPNS_17CUDAGeneratorImplEZZZNS4_16geometric_kernelIS9_EEvRNS_18TensorIteratorBaseEdT_ENKUlvE_clEvENKUlvE6_clEvEUlfE_EEvSC_T1_T2_EUlP25hiprandStatePhilox4_32_10E_ZNS1_27distribution_nullary_kernelIS7_f15HIP_vector_typeIdLj2EES9_SL_SG_EEvSC_SI_RKT3_T4_EUlifE0_EEvlNS_15PhiloxCudaStateESH_SI_
    .private_segment_fixed_size: 0
    .sgpr_count:     74
    .sgpr_spill_count: 0
    .symbol:         _ZN2at6native12_GLOBAL__N_143distribution_elementwise_grid_stride_kernelIfLi4EZNS0_9templates4cuda21uniform_and_transformIN3c104HalfEfPNS_17CUDAGeneratorImplEZZZNS4_16geometric_kernelIS9_EEvRNS_18TensorIteratorBaseEdT_ENKUlvE_clEvENKUlvE6_clEvEUlfE_EEvSC_T1_T2_EUlP25hiprandStatePhilox4_32_10E_ZNS1_27distribution_nullary_kernelIS7_f15HIP_vector_typeIdLj2EES9_SL_SG_EEvSC_SI_RKT3_T4_EUlifE0_EEvlNS_15PhiloxCudaStateESH_SI_.kd
    .uniform_work_group_size: 1
    .uses_dynamic_stack: false
    .vgpr_count:     46
    .vgpr_spill_count: 0
    .wavefront_size: 64
  - .agpr_count:     0
    .args:
      - .offset:         0
        .size:           8
        .value_kind:     by_value
      - .offset:         8
        .size:           32
        .value_kind:     by_value
      - .offset:         40
        .size:           1
        .value_kind:     by_value
      - .offset:         48
        .size:           24
        .value_kind:     by_value
      - .offset:         72
        .size:           4
        .value_kind:     hidden_block_count_x
      - .offset:         76
        .size:           4
        .value_kind:     hidden_block_count_y
      - .offset:         80
        .size:           4
        .value_kind:     hidden_block_count_z
      - .offset:         84
        .size:           2
        .value_kind:     hidden_group_size_x
      - .offset:         86
        .size:           2
        .value_kind:     hidden_group_size_y
      - .offset:         88
        .size:           2
        .value_kind:     hidden_group_size_z
      - .offset:         90
        .size:           2
        .value_kind:     hidden_remainder_x
      - .offset:         92
        .size:           2
        .value_kind:     hidden_remainder_y
      - .offset:         94
        .size:           2
        .value_kind:     hidden_remainder_z
      - .offset:         112
        .size:           8
        .value_kind:     hidden_global_offset_x
      - .offset:         120
        .size:           8
        .value_kind:     hidden_global_offset_y
      - .offset:         128
        .size:           8
        .value_kind:     hidden_global_offset_z
      - .offset:         136
        .size:           2
        .value_kind:     hidden_grid_dims
    .group_segment_fixed_size: 0
    .kernarg_segment_align: 8
    .kernarg_segment_size: 328
    .language:       OpenCL C
    .language_version:
      - 2
      - 0
    .max_flat_workgroup_size: 256
    .name:           _ZN2at6native12_GLOBAL__N_143distribution_elementwise_grid_stride_kernelIfLi4EZNS0_9templates4cuda21uniform_and_transformIN3c104HalfEfPNS_17CUDAGeneratorImplEZZZNS4_16geometric_kernelIS9_EEvRNS_18TensorIteratorBaseEdT_ENKUlvE_clEvENKUlvE6_clEvEUlfE_EEvSC_T1_T2_EUlP25hiprandStatePhilox4_32_10E0_ZNS1_27distribution_nullary_kernelIS7_f15HIP_vector_typeIfLj4EES9_SL_SG_EEvSC_SI_RKT3_T4_EUlifE_EEvlNS_15PhiloxCudaStateESH_SI_
    .private_segment_fixed_size: 0
    .sgpr_count:     30
    .sgpr_spill_count: 0
    .symbol:         _ZN2at6native12_GLOBAL__N_143distribution_elementwise_grid_stride_kernelIfLi4EZNS0_9templates4cuda21uniform_and_transformIN3c104HalfEfPNS_17CUDAGeneratorImplEZZZNS4_16geometric_kernelIS9_EEvRNS_18TensorIteratorBaseEdT_ENKUlvE_clEvENKUlvE6_clEvEUlfE_EEvSC_T1_T2_EUlP25hiprandStatePhilox4_32_10E0_ZNS1_27distribution_nullary_kernelIS7_f15HIP_vector_typeIfLj4EES9_SL_SG_EEvSC_SI_RKT3_T4_EUlifE_EEvlNS_15PhiloxCudaStateESH_SI_.kd
    .uniform_work_group_size: 1
    .uses_dynamic_stack: false
    .vgpr_count:     50
    .vgpr_spill_count: 0
    .wavefront_size: 64
  - .agpr_count:     0
    .args:
      - .offset:         0
        .size:           8
        .value_kind:     by_value
      - .offset:         8
        .size:           32
        .value_kind:     by_value
      - .offset:         40
        .size:           1
        .value_kind:     by_value
      - .offset:         48
        .size:           280
        .value_kind:     by_value
      - .offset:         328
        .size:           4
        .value_kind:     hidden_block_count_x
      - .offset:         332
        .size:           4
        .value_kind:     hidden_block_count_y
      - .offset:         336
        .size:           4
        .value_kind:     hidden_block_count_z
      - .offset:         340
        .size:           2
        .value_kind:     hidden_group_size_x
      - .offset:         342
        .size:           2
        .value_kind:     hidden_group_size_y
      - .offset:         344
        .size:           2
        .value_kind:     hidden_group_size_z
      - .offset:         346
        .size:           2
        .value_kind:     hidden_remainder_x
      - .offset:         348
        .size:           2
        .value_kind:     hidden_remainder_y
      - .offset:         350
        .size:           2
        .value_kind:     hidden_remainder_z
      - .offset:         368
        .size:           8
        .value_kind:     hidden_global_offset_x
      - .offset:         376
        .size:           8
        .value_kind:     hidden_global_offset_y
      - .offset:         384
        .size:           8
        .value_kind:     hidden_global_offset_z
      - .offset:         392
        .size:           2
        .value_kind:     hidden_grid_dims
    .group_segment_fixed_size: 0
    .kernarg_segment_align: 8
    .kernarg_segment_size: 584
    .language:       OpenCL C
    .language_version:
      - 2
      - 0
    .max_flat_workgroup_size: 256
    .name:           _ZN2at6native12_GLOBAL__N_143distribution_elementwise_grid_stride_kernelIfLi4EZNS0_9templates4cuda21uniform_and_transformIN3c104HalfEfPNS_17CUDAGeneratorImplEZZZNS4_16geometric_kernelIS9_EEvRNS_18TensorIteratorBaseEdT_ENKUlvE_clEvENKUlvE6_clEvEUlfE_EEvSC_T1_T2_EUlP25hiprandStatePhilox4_32_10E0_ZNS1_27distribution_nullary_kernelIS7_f15HIP_vector_typeIfLj4EES9_SL_SG_EEvSC_SI_RKT3_T4_EUlifE0_EEvlNS_15PhiloxCudaStateESH_SI_
    .private_segment_fixed_size: 0
    .sgpr_count:     74
    .sgpr_spill_count: 0
    .symbol:         _ZN2at6native12_GLOBAL__N_143distribution_elementwise_grid_stride_kernelIfLi4EZNS0_9templates4cuda21uniform_and_transformIN3c104HalfEfPNS_17CUDAGeneratorImplEZZZNS4_16geometric_kernelIS9_EEvRNS_18TensorIteratorBaseEdT_ENKUlvE_clEvENKUlvE6_clEvEUlfE_EEvSC_T1_T2_EUlP25hiprandStatePhilox4_32_10E0_ZNS1_27distribution_nullary_kernelIS7_f15HIP_vector_typeIfLj4EES9_SL_SG_EEvSC_SI_RKT3_T4_EUlifE0_EEvlNS_15PhiloxCudaStateESH_SI_.kd
    .uniform_work_group_size: 1
    .uses_dynamic_stack: false
    .vgpr_count:     44
    .vgpr_spill_count: 0
    .wavefront_size: 64
  - .agpr_count:     0
    .args:
      - .offset:         0
        .size:           8
        .value_kind:     by_value
      - .offset:         8
        .size:           32
        .value_kind:     by_value
      - .offset:         40
        .size:           1
        .value_kind:     by_value
      - .offset:         48
        .size:           24
        .value_kind:     by_value
      - .offset:         72
        .size:           4
        .value_kind:     hidden_block_count_x
      - .offset:         76
        .size:           4
        .value_kind:     hidden_block_count_y
      - .offset:         80
        .size:           4
        .value_kind:     hidden_block_count_z
      - .offset:         84
        .size:           2
        .value_kind:     hidden_group_size_x
      - .offset:         86
        .size:           2
        .value_kind:     hidden_group_size_y
      - .offset:         88
        .size:           2
        .value_kind:     hidden_group_size_z
      - .offset:         90
        .size:           2
        .value_kind:     hidden_remainder_x
      - .offset:         92
        .size:           2
        .value_kind:     hidden_remainder_y
      - .offset:         94
        .size:           2
        .value_kind:     hidden_remainder_z
      - .offset:         112
        .size:           8
        .value_kind:     hidden_global_offset_x
      - .offset:         120
        .size:           8
        .value_kind:     hidden_global_offset_y
      - .offset:         128
        .size:           8
        .value_kind:     hidden_global_offset_z
      - .offset:         136
        .size:           2
        .value_kind:     hidden_grid_dims
    .group_segment_fixed_size: 0
    .kernarg_segment_align: 8
    .kernarg_segment_size: 328
    .language:       OpenCL C
    .language_version:
      - 2
      - 0
    .max_flat_workgroup_size: 256
    .name:           _ZN2at6native12_GLOBAL__N_143distribution_elementwise_grid_stride_kernelIfLi4EZNS0_9templates4cuda21uniform_and_transformIN3c108BFloat16EfPNS_17CUDAGeneratorImplEZZZNS4_16geometric_kernelIS9_EEvRNS_18TensorIteratorBaseEdT_ENKUlvE_clEvENKUlvE7_clEvEUlfE_EEvSC_T1_T2_EUlP25hiprandStatePhilox4_32_10E_ZNS1_27distribution_nullary_kernelIS7_f15HIP_vector_typeIdLj2EES9_SL_SG_EEvSC_SI_RKT3_T4_EUlifE_EEvlNS_15PhiloxCudaStateESH_SI_
    .private_segment_fixed_size: 0
    .sgpr_count:     31
    .sgpr_spill_count: 0
    .symbol:         _ZN2at6native12_GLOBAL__N_143distribution_elementwise_grid_stride_kernelIfLi4EZNS0_9templates4cuda21uniform_and_transformIN3c108BFloat16EfPNS_17CUDAGeneratorImplEZZZNS4_16geometric_kernelIS9_EEvRNS_18TensorIteratorBaseEdT_ENKUlvE_clEvENKUlvE7_clEvEUlfE_EEvSC_T1_T2_EUlP25hiprandStatePhilox4_32_10E_ZNS1_27distribution_nullary_kernelIS7_f15HIP_vector_typeIdLj2EES9_SL_SG_EEvSC_SI_RKT3_T4_EUlifE_EEvlNS_15PhiloxCudaStateESH_SI_.kd
    .uniform_work_group_size: 1
    .uses_dynamic_stack: false
    .vgpr_count:     52
    .vgpr_spill_count: 0
    .wavefront_size: 64
  - .agpr_count:     0
    .args:
      - .offset:         0
        .size:           8
        .value_kind:     by_value
      - .offset:         8
        .size:           32
        .value_kind:     by_value
      - .offset:         40
        .size:           1
        .value_kind:     by_value
      - .offset:         48
        .size:           280
        .value_kind:     by_value
      - .offset:         328
        .size:           4
        .value_kind:     hidden_block_count_x
      - .offset:         332
        .size:           4
        .value_kind:     hidden_block_count_y
      - .offset:         336
        .size:           4
        .value_kind:     hidden_block_count_z
      - .offset:         340
        .size:           2
        .value_kind:     hidden_group_size_x
      - .offset:         342
        .size:           2
        .value_kind:     hidden_group_size_y
      - .offset:         344
        .size:           2
        .value_kind:     hidden_group_size_z
      - .offset:         346
        .size:           2
        .value_kind:     hidden_remainder_x
      - .offset:         348
        .size:           2
        .value_kind:     hidden_remainder_y
      - .offset:         350
        .size:           2
        .value_kind:     hidden_remainder_z
      - .offset:         368
        .size:           8
        .value_kind:     hidden_global_offset_x
      - .offset:         376
        .size:           8
        .value_kind:     hidden_global_offset_y
      - .offset:         384
        .size:           8
        .value_kind:     hidden_global_offset_z
      - .offset:         392
        .size:           2
        .value_kind:     hidden_grid_dims
    .group_segment_fixed_size: 0
    .kernarg_segment_align: 8
    .kernarg_segment_size: 584
    .language:       OpenCL C
    .language_version:
      - 2
      - 0
    .max_flat_workgroup_size: 256
    .name:           _ZN2at6native12_GLOBAL__N_143distribution_elementwise_grid_stride_kernelIfLi4EZNS0_9templates4cuda21uniform_and_transformIN3c108BFloat16EfPNS_17CUDAGeneratorImplEZZZNS4_16geometric_kernelIS9_EEvRNS_18TensorIteratorBaseEdT_ENKUlvE_clEvENKUlvE7_clEvEUlfE_EEvSC_T1_T2_EUlP25hiprandStatePhilox4_32_10E_ZNS1_27distribution_nullary_kernelIS7_f15HIP_vector_typeIdLj2EES9_SL_SG_EEvSC_SI_RKT3_T4_EUlifE0_EEvlNS_15PhiloxCudaStateESH_SI_
    .private_segment_fixed_size: 0
    .sgpr_count:     75
    .sgpr_spill_count: 0
    .symbol:         _ZN2at6native12_GLOBAL__N_143distribution_elementwise_grid_stride_kernelIfLi4EZNS0_9templates4cuda21uniform_and_transformIN3c108BFloat16EfPNS_17CUDAGeneratorImplEZZZNS4_16geometric_kernelIS9_EEvRNS_18TensorIteratorBaseEdT_ENKUlvE_clEvENKUlvE7_clEvEUlfE_EEvSC_T1_T2_EUlP25hiprandStatePhilox4_32_10E_ZNS1_27distribution_nullary_kernelIS7_f15HIP_vector_typeIdLj2EES9_SL_SG_EEvSC_SI_RKT3_T4_EUlifE0_EEvlNS_15PhiloxCudaStateESH_SI_.kd
    .uniform_work_group_size: 1
    .uses_dynamic_stack: false
    .vgpr_count:     46
    .vgpr_spill_count: 0
    .wavefront_size: 64
  - .agpr_count:     0
    .args:
      - .offset:         0
        .size:           8
        .value_kind:     by_value
      - .offset:         8
        .size:           32
        .value_kind:     by_value
      - .offset:         40
        .size:           1
        .value_kind:     by_value
      - .offset:         48
        .size:           24
        .value_kind:     by_value
      - .offset:         72
        .size:           4
        .value_kind:     hidden_block_count_x
      - .offset:         76
        .size:           4
        .value_kind:     hidden_block_count_y
      - .offset:         80
        .size:           4
        .value_kind:     hidden_block_count_z
      - .offset:         84
        .size:           2
        .value_kind:     hidden_group_size_x
      - .offset:         86
        .size:           2
        .value_kind:     hidden_group_size_y
      - .offset:         88
        .size:           2
        .value_kind:     hidden_group_size_z
      - .offset:         90
        .size:           2
        .value_kind:     hidden_remainder_x
      - .offset:         92
        .size:           2
        .value_kind:     hidden_remainder_y
      - .offset:         94
        .size:           2
        .value_kind:     hidden_remainder_z
      - .offset:         112
        .size:           8
        .value_kind:     hidden_global_offset_x
      - .offset:         120
        .size:           8
        .value_kind:     hidden_global_offset_y
      - .offset:         128
        .size:           8
        .value_kind:     hidden_global_offset_z
      - .offset:         136
        .size:           2
        .value_kind:     hidden_grid_dims
    .group_segment_fixed_size: 0
    .kernarg_segment_align: 8
    .kernarg_segment_size: 328
    .language:       OpenCL C
    .language_version:
      - 2
      - 0
    .max_flat_workgroup_size: 256
    .name:           _ZN2at6native12_GLOBAL__N_143distribution_elementwise_grid_stride_kernelIfLi4EZNS0_9templates4cuda21uniform_and_transformIN3c108BFloat16EfPNS_17CUDAGeneratorImplEZZZNS4_16geometric_kernelIS9_EEvRNS_18TensorIteratorBaseEdT_ENKUlvE_clEvENKUlvE7_clEvEUlfE_EEvSC_T1_T2_EUlP25hiprandStatePhilox4_32_10E0_ZNS1_27distribution_nullary_kernelIS7_f15HIP_vector_typeIfLj4EES9_SL_SG_EEvSC_SI_RKT3_T4_EUlifE_EEvlNS_15PhiloxCudaStateESH_SI_
    .private_segment_fixed_size: 0
    .sgpr_count:     31
    .sgpr_spill_count: 0
    .symbol:         _ZN2at6native12_GLOBAL__N_143distribution_elementwise_grid_stride_kernelIfLi4EZNS0_9templates4cuda21uniform_and_transformIN3c108BFloat16EfPNS_17CUDAGeneratorImplEZZZNS4_16geometric_kernelIS9_EEvRNS_18TensorIteratorBaseEdT_ENKUlvE_clEvENKUlvE7_clEvEUlfE_EEvSC_T1_T2_EUlP25hiprandStatePhilox4_32_10E0_ZNS1_27distribution_nullary_kernelIS7_f15HIP_vector_typeIfLj4EES9_SL_SG_EEvSC_SI_RKT3_T4_EUlifE_EEvlNS_15PhiloxCudaStateESH_SI_.kd
    .uniform_work_group_size: 1
    .uses_dynamic_stack: false
    .vgpr_count:     52
    .vgpr_spill_count: 0
    .wavefront_size: 64
  - .agpr_count:     0
    .args:
      - .offset:         0
        .size:           8
        .value_kind:     by_value
      - .offset:         8
        .size:           32
        .value_kind:     by_value
      - .offset:         40
        .size:           1
        .value_kind:     by_value
      - .offset:         48
        .size:           280
        .value_kind:     by_value
      - .offset:         328
        .size:           4
        .value_kind:     hidden_block_count_x
      - .offset:         332
        .size:           4
        .value_kind:     hidden_block_count_y
      - .offset:         336
        .size:           4
        .value_kind:     hidden_block_count_z
      - .offset:         340
        .size:           2
        .value_kind:     hidden_group_size_x
      - .offset:         342
        .size:           2
        .value_kind:     hidden_group_size_y
      - .offset:         344
        .size:           2
        .value_kind:     hidden_group_size_z
      - .offset:         346
        .size:           2
        .value_kind:     hidden_remainder_x
      - .offset:         348
        .size:           2
        .value_kind:     hidden_remainder_y
      - .offset:         350
        .size:           2
        .value_kind:     hidden_remainder_z
      - .offset:         368
        .size:           8
        .value_kind:     hidden_global_offset_x
      - .offset:         376
        .size:           8
        .value_kind:     hidden_global_offset_y
      - .offset:         384
        .size:           8
        .value_kind:     hidden_global_offset_z
      - .offset:         392
        .size:           2
        .value_kind:     hidden_grid_dims
    .group_segment_fixed_size: 0
    .kernarg_segment_align: 8
    .kernarg_segment_size: 584
    .language:       OpenCL C
    .language_version:
      - 2
      - 0
    .max_flat_workgroup_size: 256
    .name:           _ZN2at6native12_GLOBAL__N_143distribution_elementwise_grid_stride_kernelIfLi4EZNS0_9templates4cuda21uniform_and_transformIN3c108BFloat16EfPNS_17CUDAGeneratorImplEZZZNS4_16geometric_kernelIS9_EEvRNS_18TensorIteratorBaseEdT_ENKUlvE_clEvENKUlvE7_clEvEUlfE_EEvSC_T1_T2_EUlP25hiprandStatePhilox4_32_10E0_ZNS1_27distribution_nullary_kernelIS7_f15HIP_vector_typeIfLj4EES9_SL_SG_EEvSC_SI_RKT3_T4_EUlifE0_EEvlNS_15PhiloxCudaStateESH_SI_
    .private_segment_fixed_size: 0
    .sgpr_count:     75
    .sgpr_spill_count: 0
    .symbol:         _ZN2at6native12_GLOBAL__N_143distribution_elementwise_grid_stride_kernelIfLi4EZNS0_9templates4cuda21uniform_and_transformIN3c108BFloat16EfPNS_17CUDAGeneratorImplEZZZNS4_16geometric_kernelIS9_EEvRNS_18TensorIteratorBaseEdT_ENKUlvE_clEvENKUlvE7_clEvEUlfE_EEvSC_T1_T2_EUlP25hiprandStatePhilox4_32_10E0_ZNS1_27distribution_nullary_kernelIS7_f15HIP_vector_typeIfLj4EES9_SL_SG_EEvSC_SI_RKT3_T4_EUlifE0_EEvlNS_15PhiloxCudaStateESH_SI_.kd
    .uniform_work_group_size: 1
    .uses_dynamic_stack: false
    .vgpr_count:     45
    .vgpr_spill_count: 0
    .wavefront_size: 64
amdhsa.target:   amdgcn-amd-amdhsa--gfx90a
amdhsa.version:
  - 1
  - 2
...

	.end_amdgpu_metadata
